;; amdgpu-corpus repo=zjin-lcf/HeCBench kind=compiled arch=gfx1250 opt=O3
	.amdgcn_target "amdgcn-amd-amdhsa--gfx1250"
	.amdhsa_code_object_version 6
	.text
	.protected	_Z19reaction_gray_scottPKfS0_PfS1_jff ; -- Begin function _Z19reaction_gray_scottPKfS0_PfS1_jff
	.globl	_Z19reaction_gray_scottPKfS0_PfS1_jff
	.p2align	8
	.type	_Z19reaction_gray_scottPKfS0_PfS1_jff,@function
_Z19reaction_gray_scottPKfS0_PfS1_jff:  ; @_Z19reaction_gray_scottPKfS0_PfS1_jff
; %bb.0:
	s_clause 0x1
	s_load_b32 s2, s[0:1], 0x3c
	s_load_b96 s[12:14], s[0:1], 0x20
	s_bfe_u32 s3, ttmp6, 0x4000c
	s_and_b32 s4, ttmp6, 15
	s_add_co_i32 s3, s3, 1
	s_getreg_b32 s5, hwreg(HW_REG_IB_STS2, 6, 4)
	s_mul_i32 s3, ttmp9, s3
	s_mov_b32 s15, 0
	s_add_co_i32 s4, s4, s3
	s_wait_kmcnt 0x0
	s_and_b32 s2, s2, 0xffff
	s_cmp_eq_u32 s5, 0
	s_cselect_b32 s3, ttmp9, s4
	s_delay_alu instid0(SALU_CYCLE_1) | instskip(SKIP_1) | instid1(VALU_DEP_1)
	v_mad_u32 v0, s3, s2, v0
	s_mov_b32 s3, exec_lo
	v_cmpx_gt_u32_e64 s12, v0
	s_cbranch_execz .LBB0_3
; %bb.1:
	s_add_nc_u64 s[16:17], s[0:1], 48
	v_ashrrev_i32_e32 v1, 31, v0
	s_load_b32 s3, s[16:17], 0x0
	s_load_b256 s[4:11], s[0:1], 0x0
	s_add_f32 s14, s13, s14
	s_delay_alu instid0(VALU_DEP_1) | instskip(SKIP_2) | instid1(SALU_CYCLE_1)
	v_lshlrev_b64_e32 v[2:3], 2, v[0:1]
	s_wait_kmcnt 0x0
	s_mul_i32 s0, s3, s2
	s_ashr_i32 s1, s0, 31
	s_delay_alu instid0(SALU_CYCLE_1)
	s_lshl_b64 s[2:3], s[0:1], 2
.LBB0_2:                                ; =>This Inner Loop Header: Depth=1
	s_delay_alu instid0(VALU_DEP_1)
	v_add_nc_u64_e32 v[4:5], s[4:5], v[2:3]
	v_add_nc_u64_e32 v[6:7], s[6:7], v[2:3]
	;; [unrolled: 1-line block ×3, first 2 shown]
	global_load_b32 v1, v[4:5], off
	global_load_b32 v9, v[6:7], off
	v_mov_b32_e32 v8, s13
	s_wait_xcnt 0x0
	v_add_nc_u64_e32 v[6:7], s[8:9], v[2:3]
	v_add_nc_u64_e32 v[2:3], s[2:3], v[2:3]
	v_add_nc_u32_e32 v0, s0, v0
	s_delay_alu instid0(VALU_DEP_1)
	v_cmp_le_u32_e32 vcc_lo, s12, v0
	s_or_b32 s15, vcc_lo, s15
	s_wait_loadcnt 0x1
	v_sub_f32_e32 v4, 1.0, v1
	s_wait_loadcnt 0x0
	v_mul_f32_e32 v5, v1, v9
	s_delay_alu instid0(VALU_DEP_1) | instskip(NEXT) | instid1(VALU_DEP_1)
	v_pk_mul_f32 v[4:5], v[8:9], v[4:5]
	v_sub_f32_e32 v1, v4, v5
	v_fma_f32 v4, -s14, v9, v5
	global_store_b32 v[6:7], v1, off
	global_store_b32 v[10:11], v4, off
	s_wait_xcnt 0x0
	s_and_not1_b32 exec_lo, exec_lo, s15
	s_cbranch_execnz .LBB0_2
.LBB0_3:
	s_endpgm
	.section	.rodata,"a",@progbits
	.p2align	6, 0x0
	.amdhsa_kernel _Z19reaction_gray_scottPKfS0_PfS1_jff
		.amdhsa_group_segment_fixed_size 0
		.amdhsa_private_segment_fixed_size 0
		.amdhsa_kernarg_size 304
		.amdhsa_user_sgpr_count 2
		.amdhsa_user_sgpr_dispatch_ptr 0
		.amdhsa_user_sgpr_queue_ptr 0
		.amdhsa_user_sgpr_kernarg_segment_ptr 1
		.amdhsa_user_sgpr_dispatch_id 0
		.amdhsa_user_sgpr_kernarg_preload_length 0
		.amdhsa_user_sgpr_kernarg_preload_offset 0
		.amdhsa_user_sgpr_private_segment_size 0
		.amdhsa_wavefront_size32 1
		.amdhsa_uses_dynamic_stack 0
		.amdhsa_enable_private_segment 0
		.amdhsa_system_sgpr_workgroup_id_x 1
		.amdhsa_system_sgpr_workgroup_id_y 0
		.amdhsa_system_sgpr_workgroup_id_z 0
		.amdhsa_system_sgpr_workgroup_info 0
		.amdhsa_system_vgpr_workitem_id 0
		.amdhsa_next_free_vgpr 12
		.amdhsa_next_free_sgpr 18
		.amdhsa_named_barrier_count 0
		.amdhsa_reserve_vcc 1
		.amdhsa_float_round_mode_32 0
		.amdhsa_float_round_mode_16_64 0
		.amdhsa_float_denorm_mode_32 3
		.amdhsa_float_denorm_mode_16_64 3
		.amdhsa_fp16_overflow 0
		.amdhsa_memory_ordered 1
		.amdhsa_forward_progress 1
		.amdhsa_inst_pref_size 3
		.amdhsa_round_robin_scheduling 0
		.amdhsa_exception_fp_ieee_invalid_op 0
		.amdhsa_exception_fp_denorm_src 0
		.amdhsa_exception_fp_ieee_div_zero 0
		.amdhsa_exception_fp_ieee_overflow 0
		.amdhsa_exception_fp_ieee_underflow 0
		.amdhsa_exception_fp_ieee_inexact 0
		.amdhsa_exception_int_div_zero 0
	.end_amdhsa_kernel
	.text
.Lfunc_end0:
	.size	_Z19reaction_gray_scottPKfS0_PfS1_jff, .Lfunc_end0-_Z19reaction_gray_scottPKfS0_PfS1_jff
                                        ; -- End function
	.set _Z19reaction_gray_scottPKfS0_PfS1_jff.num_vgpr, 12
	.set _Z19reaction_gray_scottPKfS0_PfS1_jff.num_agpr, 0
	.set _Z19reaction_gray_scottPKfS0_PfS1_jff.numbered_sgpr, 18
	.set _Z19reaction_gray_scottPKfS0_PfS1_jff.num_named_barrier, 0
	.set _Z19reaction_gray_scottPKfS0_PfS1_jff.private_seg_size, 0
	.set _Z19reaction_gray_scottPKfS0_PfS1_jff.uses_vcc, 1
	.set _Z19reaction_gray_scottPKfS0_PfS1_jff.uses_flat_scratch, 0
	.set _Z19reaction_gray_scottPKfS0_PfS1_jff.has_dyn_sized_stack, 0
	.set _Z19reaction_gray_scottPKfS0_PfS1_jff.has_recursion, 0
	.set _Z19reaction_gray_scottPKfS0_PfS1_jff.has_indirect_call, 0
	.section	.AMDGPU.csdata,"",@progbits
; Kernel info:
; codeLenInByte = 308
; TotalNumSgprs: 20
; NumVgprs: 12
; ScratchSize: 0
; MemoryBound: 0
; FloatMode: 240
; IeeeMode: 1
; LDSByteSize: 0 bytes/workgroup (compile time only)
; SGPRBlocks: 0
; VGPRBlocks: 0
; NumSGPRsForWavesPerEU: 20
; NumVGPRsForWavesPerEU: 12
; NamedBarCnt: 0
; Occupancy: 16
; WaveLimiterHint : 0
; COMPUTE_PGM_RSRC2:SCRATCH_EN: 0
; COMPUTE_PGM_RSRC2:USER_SGPR: 2
; COMPUTE_PGM_RSRC2:TRAP_HANDLER: 0
; COMPUTE_PGM_RSRC2:TGID_X_EN: 1
; COMPUTE_PGM_RSRC2:TGID_Y_EN: 0
; COMPUTE_PGM_RSRC2:TGID_Z_EN: 0
; COMPUTE_PGM_RSRC2:TIDIG_COMP_CNT: 0
	.text
	.protected	_Z17derivative_x2_pbcPKfPfjjj ; -- Begin function _Z17derivative_x2_pbcPKfPfjjj
	.globl	_Z17derivative_x2_pbcPKfPfjjj
	.p2align	8
	.type	_Z17derivative_x2_pbcPKfPfjjj,@function
_Z17derivative_x2_pbcPKfPfjjj:          ; @_Z17derivative_x2_pbcPKfPfjjj
; %bb.0:
	s_clause 0x2
	s_load_u16 s8, s[0:1], 0x2e
	s_load_b64 s[2:3], s[0:1], 0x10
	s_load_b128 s[4:7], s[0:1], 0x0
	s_wait_xcnt 0x0
	s_bfe_u32 s1, ttmp6, 0x4000c
	s_bfe_u32 s9, ttmp6, 0x40010
	s_add_co_i32 s1, s1, 1
	s_add_co_i32 s9, s9, 1
	s_and_b32 s0, ttmp6, 15
	s_bfe_u32 s10, ttmp6, 0x40004
	s_mul_i32 s1, ttmp9, s1
	s_mul_i32 s9, ttmp7, s9
	s_getreg_b32 s11, hwreg(HW_REG_IB_STS2, 6, 4)
	s_add_co_i32 s0, s0, s1
	s_add_co_i32 s10, s10, s9
	s_cmp_eq_u32 s11, 0
	v_bfe_u32 v1, v0, 10, 10
	s_cselect_b32 s0, ttmp9, s0
	s_cselect_b32 s1, ttmp7, s10
	v_and_b32_e32 v2, 0x3ff, v0
	s_wait_kmcnt 0x0
	s_mul_i32 s0, s0, s8
	s_mul_i32 s1, s3, s1
	s_delay_alu instid0(SALU_CYCLE_1) | instskip(SKIP_1) | instid1(SALU_CYCLE_1)
	v_add3_u32 v0, s0, s1, v1
	s_add_co_i32 s0, s2, 2
	v_mul_lo_u32 v4, s0, v1
	s_mov_b32 s0, exec_lo
	s_delay_alu instid0(VALU_DEP_2) | instskip(NEXT) | instid1(VALU_DEP_2)
	v_mad_u32 v0, v0, s2, v2
	v_add_nc_u32_e32 v1, v2, v4
	global_load_b32 v5, v0, s[4:5] scale_offset
	v_lshl_add_u32 v3, v1, 2, 0
	v_ashrrev_i32_e32 v1, 31, v0
	s_wait_loadcnt 0x0
	ds_store_b32 v3, v5 offset:4
	s_wait_dscnt 0x0
	s_barrier_signal -1
	s_barrier_wait -1
	v_cmpx_eq_u32_e32 0, v2
	s_cbranch_execz .LBB1_2
; %bb.1:
	v_lshl_add_u32 v5, v4, 2, 0
	s_delay_alu instid0(VALU_DEP_1)
	v_lshl_add_u32 v6, s2, 2, v5
	ds_load_b32 v7, v6
	s_wait_dscnt 0x0
	ds_store_b32 v5, v7
	ds_load_b32 v5, v3 offset:4
	s_wait_dscnt 0x0
	ds_store_b32 v6, v5 offset:4
.LBB1_2:
	s_or_b32 exec_lo, exec_lo, s0
	v_dual_lshlrev_b32 v4, 2, v4 :: v_dual_lshlrev_b32 v2, 2, v2
	s_wait_dscnt 0x0
	s_barrier_signal -1
	s_barrier_wait -1
	s_delay_alu instid0(VALU_DEP_1)
	v_add3_u32 v2, 0, v4, v2
	v_lshl_add_u64 v[0:1], v[0:1], 2, s[6:7]
	ds_load_b32 v4, v3 offset:8
	ds_load_2addr_b32 v[2:3], v2 offset1:1
	s_wait_dscnt 0x0
	v_fmac_f32_e32 v4, -2.0, v3
	s_delay_alu instid0(VALU_DEP_1)
	v_add_f32_e32 v2, v2, v4
	global_store_b32 v[0:1], v2, off
	s_endpgm
	.section	.rodata,"a",@progbits
	.p2align	6, 0x0
	.amdhsa_kernel _Z17derivative_x2_pbcPKfPfjjj
		.amdhsa_group_segment_fixed_size 0
		.amdhsa_private_segment_fixed_size 0
		.amdhsa_kernarg_size 288
		.amdhsa_user_sgpr_count 2
		.amdhsa_user_sgpr_dispatch_ptr 0
		.amdhsa_user_sgpr_queue_ptr 0
		.amdhsa_user_sgpr_kernarg_segment_ptr 1
		.amdhsa_user_sgpr_dispatch_id 0
		.amdhsa_user_sgpr_kernarg_preload_length 0
		.amdhsa_user_sgpr_kernarg_preload_offset 0
		.amdhsa_user_sgpr_private_segment_size 0
		.amdhsa_wavefront_size32 1
		.amdhsa_uses_dynamic_stack 0
		.amdhsa_enable_private_segment 0
		.amdhsa_system_sgpr_workgroup_id_x 1
		.amdhsa_system_sgpr_workgroup_id_y 1
		.amdhsa_system_sgpr_workgroup_id_z 0
		.amdhsa_system_sgpr_workgroup_info 0
		.amdhsa_system_vgpr_workitem_id 1
		.amdhsa_next_free_vgpr 8
		.amdhsa_next_free_sgpr 12
		.amdhsa_named_barrier_count 0
		.amdhsa_reserve_vcc 0
		.amdhsa_float_round_mode_32 0
		.amdhsa_float_round_mode_16_64 0
		.amdhsa_float_denorm_mode_32 3
		.amdhsa_float_denorm_mode_16_64 3
		.amdhsa_fp16_overflow 0
		.amdhsa_memory_ordered 1
		.amdhsa_forward_progress 1
		.amdhsa_inst_pref_size 3
		.amdhsa_round_robin_scheduling 0
		.amdhsa_exception_fp_ieee_invalid_op 0
		.amdhsa_exception_fp_denorm_src 0
		.amdhsa_exception_fp_ieee_div_zero 0
		.amdhsa_exception_fp_ieee_overflow 0
		.amdhsa_exception_fp_ieee_underflow 0
		.amdhsa_exception_fp_ieee_inexact 0
		.amdhsa_exception_int_div_zero 0
	.end_amdhsa_kernel
	.text
.Lfunc_end1:
	.size	_Z17derivative_x2_pbcPKfPfjjj, .Lfunc_end1-_Z17derivative_x2_pbcPKfPfjjj
                                        ; -- End function
	.set _Z17derivative_x2_pbcPKfPfjjj.num_vgpr, 8
	.set _Z17derivative_x2_pbcPKfPfjjj.num_agpr, 0
	.set _Z17derivative_x2_pbcPKfPfjjj.numbered_sgpr, 12
	.set _Z17derivative_x2_pbcPKfPfjjj.num_named_barrier, 0
	.set _Z17derivative_x2_pbcPKfPfjjj.private_seg_size, 0
	.set _Z17derivative_x2_pbcPKfPfjjj.uses_vcc, 0
	.set _Z17derivative_x2_pbcPKfPfjjj.uses_flat_scratch, 0
	.set _Z17derivative_x2_pbcPKfPfjjj.has_dyn_sized_stack, 0
	.set _Z17derivative_x2_pbcPKfPfjjj.has_recursion, 0
	.set _Z17derivative_x2_pbcPKfPfjjj.has_indirect_call, 0
	.section	.AMDGPU.csdata,"",@progbits
; Kernel info:
; codeLenInByte = 384
; TotalNumSgprs: 12
; NumVgprs: 8
; ScratchSize: 0
; MemoryBound: 0
; FloatMode: 240
; IeeeMode: 1
; LDSByteSize: 0 bytes/workgroup (compile time only)
; SGPRBlocks: 0
; VGPRBlocks: 0
; NumSGPRsForWavesPerEU: 12
; NumVGPRsForWavesPerEU: 8
; NamedBarCnt: 0
; Occupancy: 16
; WaveLimiterHint : 0
; COMPUTE_PGM_RSRC2:SCRATCH_EN: 0
; COMPUTE_PGM_RSRC2:USER_SGPR: 2
; COMPUTE_PGM_RSRC2:TRAP_HANDLER: 0
; COMPUTE_PGM_RSRC2:TGID_X_EN: 1
; COMPUTE_PGM_RSRC2:TGID_Y_EN: 1
; COMPUTE_PGM_RSRC2:TGID_Z_EN: 0
; COMPUTE_PGM_RSRC2:TIDIG_COMP_CNT: 1
	.text
	.protected	_Z22derivative_x2_zerofluxPKfPfjj ; -- Begin function _Z22derivative_x2_zerofluxPKfPfjj
	.globl	_Z22derivative_x2_zerofluxPKfPfjj
	.p2align	8
	.type	_Z22derivative_x2_zerofluxPKfPfjj,@function
_Z22derivative_x2_zerofluxPKfPfjj:      ; @_Z22derivative_x2_zerofluxPKfPfjj
; %bb.0:
	s_clause 0x2
	s_load_u16 s6, s[0:1], 0x26
	s_load_b64 s[2:3], s[0:1], 0x10
	s_load_b64 s[4:5], s[0:1], 0x0
	s_bfe_u32 s8, ttmp6, 0x4000c
	s_bfe_u32 s9, ttmp6, 0x40010
	s_add_co_i32 s8, s8, 1
	s_add_co_i32 s9, s9, 1
	s_and_b32 s7, ttmp6, 15
	s_bfe_u32 s10, ttmp6, 0x40004
	s_mul_i32 s8, ttmp9, s8
	s_mul_i32 s9, ttmp7, s9
	s_getreg_b32 s11, hwreg(HW_REG_IB_STS2, 6, 4)
	s_add_co_i32 s7, s7, s8
	s_add_co_i32 s10, s10, s9
	s_cmp_eq_u32 s11, 0
	v_bfe_u32 v1, v0, 10, 10
	s_cselect_b32 s7, ttmp9, s7
	s_cselect_b32 s8, ttmp7, s10
	v_and_b32_e32 v5, 0x3ff, v0
	s_wait_kmcnt 0x0
	s_mul_i32 s7, s7, s6
	s_mul_i32 s3, s3, s8
	s_delay_alu instid0(SALU_CYCLE_1) | instskip(SKIP_2) | instid1(VALU_DEP_2)
	v_add3_u32 v0, s7, s3, v1
	v_mul_lo_u32 v1, s2, v1
	s_mov_b32 s3, exec_lo
	v_mad_u32 v0, v0, s2, v5
	v_lshlrev_b32_e32 v3, 2, v5
	s_delay_alu instid0(VALU_DEP_3)
	v_lshlrev_b32_e32 v1, 2, v1
	global_load_b32 v2, v0, s[4:5] scale_offset
	v_add3_u32 v4, 0, v1, v3
	v_ashrrev_i32_e32 v1, 31, v0
	s_wait_loadcnt 0x0
	ds_store_b32 v4, v2
	s_wait_dscnt 0x0
	s_barrier_signal -1
	s_barrier_wait -1
	ds_load_b32 v3, v4
                                        ; implicit-def: $vgpr2
	v_cmpx_ne_u32_e32 0, v5
	s_xor_b32 s3, exec_lo, s3
	s_cbranch_execnz .LBB2_3
; %bb.1:
	s_or_saveexec_b32 s2, s3
	s_load_b64 s[0:1], s[0:1], 0x8
	s_xor_b32 exec_lo, exec_lo, s2
	s_cbranch_execnz .LBB2_8
.LBB2_2:
	s_or_b32 exec_lo, exec_lo, s2
	s_wait_kmcnt 0x0
	v_lshl_add_u64 v[0:1], v[0:1], 2, s[0:1]
	global_store_b32 v[0:1], v2, off
	s_endpgm
.LBB2_3:
	s_add_co_i32 s2, s2, -1
                                        ; implicit-def: $vgpr2
	s_delay_alu instid0(SALU_CYCLE_1) | instskip(SKIP_2) | instid1(SALU_CYCLE_1)
	v_cmp_ne_u32_e32 vcc_lo, s2, v5
	v_add_nc_u32_e32 v5, -4, v4
	s_and_saveexec_b32 s2, vcc_lo
	s_xor_b32 s2, exec_lo, s2
	s_cbranch_execz .LBB2_5
; %bb.4:
	ds_load_b32 v2, v4 offset:4
	ds_load_b32 v4, v5
                                        ; implicit-def: $vgpr5
	s_wait_dscnt 0x1
	v_fmac_f32_e32 v2, -2.0, v3
                                        ; implicit-def: $vgpr3
	s_wait_dscnt 0x0
	s_delay_alu instid0(VALU_DEP_1)
	v_add_f32_e32 v2, v4, v2
.LBB2_5:
	s_and_not1_saveexec_b32 s2, s2
	s_cbranch_execz .LBB2_7
; %bb.6:
	ds_load_b32 v2, v5
	s_wait_dscnt 0x0
	v_sub_f32_e32 v2, v2, v3
.LBB2_7:
	s_or_b32 exec_lo, exec_lo, s2
                                        ; implicit-def: $vgpr4
                                        ; implicit-def: $vgpr3
	s_or_saveexec_b32 s2, s3
	s_load_b64 s[0:1], s[0:1], 0x8
	s_xor_b32 exec_lo, exec_lo, s2
	s_cbranch_execz .LBB2_2
.LBB2_8:
	ds_load_b32 v2, v4 offset:4
	s_wait_dscnt 0x0
	v_sub_f32_e32 v2, v2, v3
	s_or_b32 exec_lo, exec_lo, s2
	s_wait_kmcnt 0x0
	v_lshl_add_u64 v[0:1], v[0:1], 2, s[0:1]
	global_store_b32 v[0:1], v2, off
	s_endpgm
	.section	.rodata,"a",@progbits
	.p2align	6, 0x0
	.amdhsa_kernel _Z22derivative_x2_zerofluxPKfPfjj
		.amdhsa_group_segment_fixed_size 0
		.amdhsa_private_segment_fixed_size 0
		.amdhsa_kernarg_size 280
		.amdhsa_user_sgpr_count 2
		.amdhsa_user_sgpr_dispatch_ptr 0
		.amdhsa_user_sgpr_queue_ptr 0
		.amdhsa_user_sgpr_kernarg_segment_ptr 1
		.amdhsa_user_sgpr_dispatch_id 0
		.amdhsa_user_sgpr_kernarg_preload_length 0
		.amdhsa_user_sgpr_kernarg_preload_offset 0
		.amdhsa_user_sgpr_private_segment_size 0
		.amdhsa_wavefront_size32 1
		.amdhsa_uses_dynamic_stack 0
		.amdhsa_enable_private_segment 0
		.amdhsa_system_sgpr_workgroup_id_x 1
		.amdhsa_system_sgpr_workgroup_id_y 1
		.amdhsa_system_sgpr_workgroup_id_z 0
		.amdhsa_system_sgpr_workgroup_info 0
		.amdhsa_system_vgpr_workitem_id 1
		.amdhsa_next_free_vgpr 6
		.amdhsa_next_free_sgpr 12
		.amdhsa_named_barrier_count 0
		.amdhsa_reserve_vcc 1
		.amdhsa_float_round_mode_32 0
		.amdhsa_float_round_mode_16_64 0
		.amdhsa_float_denorm_mode_32 3
		.amdhsa_float_denorm_mode_16_64 3
		.amdhsa_fp16_overflow 0
		.amdhsa_memory_ordered 1
		.amdhsa_forward_progress 1
		.amdhsa_inst_pref_size 4
		.amdhsa_round_robin_scheduling 0
		.amdhsa_exception_fp_ieee_invalid_op 0
		.amdhsa_exception_fp_denorm_src 0
		.amdhsa_exception_fp_ieee_div_zero 0
		.amdhsa_exception_fp_ieee_overflow 0
		.amdhsa_exception_fp_ieee_underflow 0
		.amdhsa_exception_fp_ieee_inexact 0
		.amdhsa_exception_int_div_zero 0
	.end_amdhsa_kernel
	.text
.Lfunc_end2:
	.size	_Z22derivative_x2_zerofluxPKfPfjj, .Lfunc_end2-_Z22derivative_x2_zerofluxPKfPfjj
                                        ; -- End function
	.set _Z22derivative_x2_zerofluxPKfPfjj.num_vgpr, 6
	.set _Z22derivative_x2_zerofluxPKfPfjj.num_agpr, 0
	.set _Z22derivative_x2_zerofluxPKfPfjj.numbered_sgpr, 12
	.set _Z22derivative_x2_zerofluxPKfPfjj.num_named_barrier, 0
	.set _Z22derivative_x2_zerofluxPKfPfjj.private_seg_size, 0
	.set _Z22derivative_x2_zerofluxPKfPfjj.uses_vcc, 1
	.set _Z22derivative_x2_zerofluxPKfPfjj.uses_flat_scratch, 0
	.set _Z22derivative_x2_zerofluxPKfPfjj.has_dyn_sized_stack, 0
	.set _Z22derivative_x2_zerofluxPKfPfjj.has_recursion, 0
	.set _Z22derivative_x2_zerofluxPKfPfjj.has_indirect_call, 0
	.section	.AMDGPU.csdata,"",@progbits
; Kernel info:
; codeLenInByte = 448
; TotalNumSgprs: 14
; NumVgprs: 6
; ScratchSize: 0
; MemoryBound: 0
; FloatMode: 240
; IeeeMode: 1
; LDSByteSize: 0 bytes/workgroup (compile time only)
; SGPRBlocks: 0
; VGPRBlocks: 0
; NumSGPRsForWavesPerEU: 14
; NumVGPRsForWavesPerEU: 6
; NamedBarCnt: 0
; Occupancy: 16
; WaveLimiterHint : 0
; COMPUTE_PGM_RSRC2:SCRATCH_EN: 0
; COMPUTE_PGM_RSRC2:USER_SGPR: 2
; COMPUTE_PGM_RSRC2:TRAP_HANDLER: 0
; COMPUTE_PGM_RSRC2:TGID_X_EN: 1
; COMPUTE_PGM_RSRC2:TGID_Y_EN: 1
; COMPUTE_PGM_RSRC2:TGID_Z_EN: 0
; COMPUTE_PGM_RSRC2:TIDIG_COMP_CNT: 1
	.text
	.protected	_Z17derivative_y2_pbcPKfPfjjj ; -- Begin function _Z17derivative_y2_pbcPKfPfjjj
	.globl	_Z17derivative_y2_pbcPKfPfjjj
	.p2align	8
	.type	_Z17derivative_y2_pbcPKfPfjjj,@function
_Z17derivative_y2_pbcPKfPfjjj:          ; @_Z17derivative_y2_pbcPKfPfjjj
; %bb.0:
	s_clause 0x1
	s_load_b32 s2, s[0:1], 0x2c
	s_load_b96 s[4:6], s[0:1], 0x10
	s_bfe_u32 s7, ttmp6, 0x4000c
	s_bfe_u32 s8, ttmp6, 0x40010
	s_add_co_i32 s7, s7, 1
	s_add_co_i32 s8, s8, 1
	s_and_b32 s3, ttmp6, 15
	s_bfe_u32 s9, ttmp6, 0x40004
	s_mul_i32 s7, ttmp9, s7
	s_mul_i32 s8, ttmp7, s8
	s_getreg_b32 s10, hwreg(HW_REG_IB_STS2, 6, 4)
	v_bfe_u32 v2, v0, 10, 10
	s_add_co_i32 s7, s3, s7
	s_add_co_i32 s9, s9, s8
	v_and_b32_e32 v5, 0x3ff, v0
	s_delay_alu instid0(VALU_DEP_2) | instskip(SKIP_4) | instid1(SALU_CYCLE_1)
	v_add_nc_u32_e32 v6, 1, v2
	s_wait_kmcnt 0x0
	s_and_b32 s8, s2, 0xffff
	s_cmp_eq_u32 s10, 0
	s_cselect_b32 s2, ttmp7, s9
	v_mad_u32 v1, s5, s2, v2
	s_load_b128 s[0:3], s[0:1], 0x0
	s_delay_alu instid0(VALU_DEP_1) | instskip(SKIP_2) | instid1(VALU_DEP_2)
	v_mad_u32 v0, v1, s4, v5
	s_cselect_b32 s4, ttmp9, s7
	v_mul_lo_u32 v1, s6, v6
	v_mad_u32 v0, s4, s8, v0
	s_delay_alu instid0(VALU_DEP_2) | instskip(NEXT) | instid1(VALU_DEP_1)
	v_lshl_add_u32 v4, v1, 2, 0
	v_lshl_add_u32 v3, v5, 2, v4
	v_lshlrev_b32_e32 v5, 2, v5
	s_wait_kmcnt 0x0
	global_load_b32 v7, v0, s[0:1] scale_offset
	v_ashrrev_i32_e32 v1, 31, v0
	s_wait_xcnt 0x0
	s_mov_b32 s0, exec_lo
	s_wait_loadcnt 0x0
	ds_store_b32 v3, v7
	s_wait_dscnt 0x0
	s_barrier_signal -1
	s_barrier_wait -1
	v_cmpx_eq_u32_e32 0, v2
	s_cbranch_execz .LBB3_2
; %bb.1:
	s_mul_i32 s1, s6, s5
	v_dual_add_nc_u32 v8, 0, v5 :: v_dual_add_nc_u32 v6, s5, v6
	s_lshl_b32 s1, s1, 2
	s_delay_alu instid0(SALU_CYCLE_1) | instskip(NEXT) | instid1(VALU_DEP_2)
	v_add3_u32 v7, 0, s1, v5
	v_mul_lo_u32 v6, v6, s6
	ds_load_b32 v7, v7
	v_lshl_add_u32 v6, v6, 2, v8
	s_wait_dscnt 0x0
	ds_store_b32 v8, v7
	ds_load_b32 v7, v3
	s_wait_dscnt 0x0
	ds_store_b32 v6, v7
.LBB3_2:
	s_or_b32 exec_lo, exec_lo, s0
	v_mul_lo_u32 v2, s6, v2
	s_lshl_b32 s0, s6, 2
	s_wait_dscnt 0x0
	v_add3_u32 v4, v4, s0, v5
	s_barrier_signal -1
	s_barrier_wait -1
	v_lshl_add_u64 v[0:1], v[0:1], 2, s[2:3]
	s_delay_alu instid0(VALU_DEP_3) | instskip(NEXT) | instid1(VALU_DEP_1)
	v_lshlrev_b32_e32 v2, 2, v2
	v_add3_u32 v2, 0, v2, v5
	ds_load_b32 v4, v4
	ds_load_b32 v2, v2
	;; [unrolled: 1-line block ×3, first 2 shown]
	s_wait_dscnt 0x0
	v_fmac_f32_e32 v4, -2.0, v3
	s_delay_alu instid0(VALU_DEP_1)
	v_add_f32_e32 v2, v2, v4
	global_store_b32 v[0:1], v2, off
	s_endpgm
	.section	.rodata,"a",@progbits
	.p2align	6, 0x0
	.amdhsa_kernel _Z17derivative_y2_pbcPKfPfjjj
		.amdhsa_group_segment_fixed_size 0
		.amdhsa_private_segment_fixed_size 0
		.amdhsa_kernarg_size 288
		.amdhsa_user_sgpr_count 2
		.amdhsa_user_sgpr_dispatch_ptr 0
		.amdhsa_user_sgpr_queue_ptr 0
		.amdhsa_user_sgpr_kernarg_segment_ptr 1
		.amdhsa_user_sgpr_dispatch_id 0
		.amdhsa_user_sgpr_kernarg_preload_length 0
		.amdhsa_user_sgpr_kernarg_preload_offset 0
		.amdhsa_user_sgpr_private_segment_size 0
		.amdhsa_wavefront_size32 1
		.amdhsa_uses_dynamic_stack 0
		.amdhsa_enable_private_segment 0
		.amdhsa_system_sgpr_workgroup_id_x 1
		.amdhsa_system_sgpr_workgroup_id_y 1
		.amdhsa_system_sgpr_workgroup_id_z 0
		.amdhsa_system_sgpr_workgroup_info 0
		.amdhsa_system_vgpr_workitem_id 1
		.amdhsa_next_free_vgpr 9
		.amdhsa_next_free_sgpr 11
		.amdhsa_named_barrier_count 0
		.amdhsa_reserve_vcc 0
		.amdhsa_float_round_mode_32 0
		.amdhsa_float_round_mode_16_64 0
		.amdhsa_float_denorm_mode_32 3
		.amdhsa_float_denorm_mode_16_64 3
		.amdhsa_fp16_overflow 0
		.amdhsa_memory_ordered 1
		.amdhsa_forward_progress 1
		.amdhsa_inst_pref_size 4
		.amdhsa_round_robin_scheduling 0
		.amdhsa_exception_fp_ieee_invalid_op 0
		.amdhsa_exception_fp_denorm_src 0
		.amdhsa_exception_fp_ieee_div_zero 0
		.amdhsa_exception_fp_ieee_overflow 0
		.amdhsa_exception_fp_ieee_underflow 0
		.amdhsa_exception_fp_ieee_inexact 0
		.amdhsa_exception_int_div_zero 0
	.end_amdhsa_kernel
	.text
.Lfunc_end3:
	.size	_Z17derivative_y2_pbcPKfPfjjj, .Lfunc_end3-_Z17derivative_y2_pbcPKfPfjjj
                                        ; -- End function
	.set _Z17derivative_y2_pbcPKfPfjjj.num_vgpr, 9
	.set _Z17derivative_y2_pbcPKfPfjjj.num_agpr, 0
	.set _Z17derivative_y2_pbcPKfPfjjj.numbered_sgpr, 11
	.set _Z17derivative_y2_pbcPKfPfjjj.num_named_barrier, 0
	.set _Z17derivative_y2_pbcPKfPfjjj.private_seg_size, 0
	.set _Z17derivative_y2_pbcPKfPfjjj.uses_vcc, 0
	.set _Z17derivative_y2_pbcPKfPfjjj.uses_flat_scratch, 0
	.set _Z17derivative_y2_pbcPKfPfjjj.has_dyn_sized_stack, 0
	.set _Z17derivative_y2_pbcPKfPfjjj.has_recursion, 0
	.set _Z17derivative_y2_pbcPKfPfjjj.has_indirect_call, 0
	.section	.AMDGPU.csdata,"",@progbits
; Kernel info:
; codeLenInByte = 456
; TotalNumSgprs: 11
; NumVgprs: 9
; ScratchSize: 0
; MemoryBound: 0
; FloatMode: 240
; IeeeMode: 1
; LDSByteSize: 0 bytes/workgroup (compile time only)
; SGPRBlocks: 0
; VGPRBlocks: 0
; NumSGPRsForWavesPerEU: 11
; NumVGPRsForWavesPerEU: 9
; NamedBarCnt: 0
; Occupancy: 16
; WaveLimiterHint : 0
; COMPUTE_PGM_RSRC2:SCRATCH_EN: 0
; COMPUTE_PGM_RSRC2:USER_SGPR: 2
; COMPUTE_PGM_RSRC2:TRAP_HANDLER: 0
; COMPUTE_PGM_RSRC2:TGID_X_EN: 1
; COMPUTE_PGM_RSRC2:TGID_Y_EN: 1
; COMPUTE_PGM_RSRC2:TGID_Z_EN: 0
; COMPUTE_PGM_RSRC2:TIDIG_COMP_CNT: 1
	.text
	.protected	_Z22derivative_y2_zerofluxPKfPfjjj ; -- Begin function _Z22derivative_y2_zerofluxPKfPfjjj
	.globl	_Z22derivative_y2_zerofluxPKfPfjjj
	.p2align	8
	.type	_Z22derivative_y2_zerofluxPKfPfjjj,@function
_Z22derivative_y2_zerofluxPKfPfjjj:     ; @_Z22derivative_y2_zerofluxPKfPfjjj
; %bb.0:
	s_clause 0x1
	s_load_b32 s2, s[0:1], 0x2c
	s_load_b96 s[4:6], s[0:1], 0x10
	s_bfe_u32 s7, ttmp6, 0x4000c
	s_bfe_u32 s8, ttmp6, 0x40010
	s_add_co_i32 s7, s7, 1
	s_add_co_i32 s8, s8, 1
	s_and_b32 s3, ttmp6, 15
	s_bfe_u32 s9, ttmp6, 0x40004
	s_mul_i32 s7, ttmp9, s7
	s_mul_i32 s8, ttmp7, s8
	s_getreg_b32 s10, hwreg(HW_REG_IB_STS2, 6, 4)
	v_bfe_u32 v7, v0, 10, 10
	s_add_co_i32 s7, s3, s7
	s_add_co_i32 s9, s9, s8
	v_and_b32_e32 v2, 0x3ff, v0
	s_wait_kmcnt 0x0
	s_and_b32 s8, s2, 0xffff
	s_cmp_eq_u32 s10, 0
	v_mul_lo_u32 v4, s6, v7
	s_cselect_b32 s2, ttmp7, s9
	s_delay_alu instid0(SALU_CYCLE_1) | instskip(SKIP_1) | instid1(VALU_DEP_2)
	v_mad_u32 v1, s5, s2, v7
	s_load_b64 s[2:3], s[0:1], 0x0
	v_lshl_add_u32 v5, v4, 2, 0
	s_delay_alu instid0(VALU_DEP_2) | instskip(SKIP_1) | instid1(VALU_DEP_2)
	v_mad_u32 v0, v1, s4, v2
	s_cselect_b32 s4, ttmp9, s7
	v_lshl_add_u32 v6, v2, 2, v5
	s_delay_alu instid0(VALU_DEP_2)
	v_mad_u32 v0, s4, s8, v0
	s_wait_kmcnt 0x0
	global_load_b32 v3, v0, s[2:3] scale_offset
	v_ashrrev_i32_e32 v1, 31, v0
	s_wait_xcnt 0x0
	s_mov_b32 s2, exec_lo
	s_wait_loadcnt 0x0
	ds_store_b32 v6, v3
	s_wait_dscnt 0x0
	s_barrier_signal -1
	s_barrier_wait -1
                                        ; implicit-def: $vgpr3
	v_cmpx_ne_u32_e32 0, v7
	s_xor_b32 s2, exec_lo, s2
	s_cbranch_execnz .LBB4_3
; %bb.1:
	s_or_saveexec_b32 s2, s2
	s_load_b64 s[0:1], s[0:1], 0x8
	s_xor_b32 exec_lo, exec_lo, s2
	s_cbranch_execnz .LBB4_8
.LBB4_2:
	s_or_b32 exec_lo, exec_lo, s2
	s_wait_kmcnt 0x0
	v_lshl_add_u64 v[0:1], v[0:1], 2, s[0:1]
	global_store_b32 v[0:1], v3, off
	s_endpgm
.LBB4_3:
	ds_load_b32 v6, v6
	s_add_co_i32 s3, s5, -1
                                        ; implicit-def: $vgpr3
	s_delay_alu instid0(SALU_CYCLE_1) | instskip(SKIP_1) | instid1(SALU_CYCLE_1)
	v_cmp_ne_u32_e32 vcc_lo, s3, v7
	s_and_saveexec_b32 s3, vcc_lo
	s_xor_b32 s3, exec_lo, s3
	s_cbranch_execz .LBB4_5
; %bb.4:
	v_dual_add_nc_u32 v3, s6, v4 :: v_dual_lshlrev_b32 v2, 2, v2
	s_lshl_b32 s4, s6, 1
	s_delay_alu instid0(VALU_DEP_1) | instid1(SALU_CYCLE_1)
	v_subrev_nc_u32_e32 v3, s4, v3
	s_lshl_b32 s4, s6, 2
	s_delay_alu instid0(VALU_DEP_2) | instid1(SALU_CYCLE_1)
	v_add3_u32 v4, v5, s4, v2
	s_delay_alu instid0(VALU_DEP_2) | instskip(NEXT) | instid1(VALU_DEP_1)
	v_lshlrev_b32_e32 v3, 2, v3
	v_add3_u32 v2, 0, v3, v2
	ds_load_b32 v3, v4
	ds_load_b32 v2, v2
                                        ; implicit-def: $vgpr4
	s_wait_dscnt 0x1
	v_fmac_f32_e32 v3, -2.0, v6
                                        ; implicit-def: $vgpr6
	s_wait_dscnt 0x0
	s_delay_alu instid0(VALU_DEP_1)
	v_add_f32_e32 v3, v2, v3
                                        ; implicit-def: $vgpr2
.LBB4_5:
	s_and_not1_saveexec_b32 s3, s3
	s_cbranch_execz .LBB4_7
; %bb.6:
	v_subrev_nc_u32_e32 v3, s6, v4
	s_delay_alu instid0(VALU_DEP_1) | instskip(NEXT) | instid1(VALU_DEP_1)
	v_dual_lshlrev_b32 v2, 2, v2 :: v_dual_lshlrev_b32 v3, 2, v3
	v_add3_u32 v2, 0, v3, v2
	ds_load_b32 v2, v2
	s_wait_dscnt 0x0
	v_sub_f32_e32 v3, v2, v6
.LBB4_7:
	s_or_b32 exec_lo, exec_lo, s3
                                        ; implicit-def: $vgpr2
                                        ; implicit-def: $vgpr6
	s_or_saveexec_b32 s2, s2
	s_load_b64 s[0:1], s[0:1], 0x8
	s_xor_b32 exec_lo, exec_lo, s2
	s_cbranch_execz .LBB4_2
.LBB4_8:
	v_lshlrev_b32_e32 v2, 2, v2
	s_lshl_b32 s3, s6, 2
	s_delay_alu instid0(VALU_DEP_1) | instid1(SALU_CYCLE_1)
	v_add3_u32 v2, 0, s3, v2
	ds_load_b32 v2, v2
	s_wait_dscnt 0x1
	ds_load_b32 v3, v6
	s_wait_dscnt 0x0
	v_sub_f32_e32 v3, v2, v3
	s_or_b32 exec_lo, exec_lo, s2
	s_wait_kmcnt 0x0
	v_lshl_add_u64 v[0:1], v[0:1], 2, s[0:1]
	global_store_b32 v[0:1], v3, off
	s_endpgm
	.section	.rodata,"a",@progbits
	.p2align	6, 0x0
	.amdhsa_kernel _Z22derivative_y2_zerofluxPKfPfjjj
		.amdhsa_group_segment_fixed_size 0
		.amdhsa_private_segment_fixed_size 0
		.amdhsa_kernarg_size 288
		.amdhsa_user_sgpr_count 2
		.amdhsa_user_sgpr_dispatch_ptr 0
		.amdhsa_user_sgpr_queue_ptr 0
		.amdhsa_user_sgpr_kernarg_segment_ptr 1
		.amdhsa_user_sgpr_dispatch_id 0
		.amdhsa_user_sgpr_kernarg_preload_length 0
		.amdhsa_user_sgpr_kernarg_preload_offset 0
		.amdhsa_user_sgpr_private_segment_size 0
		.amdhsa_wavefront_size32 1
		.amdhsa_uses_dynamic_stack 0
		.amdhsa_enable_private_segment 0
		.amdhsa_system_sgpr_workgroup_id_x 1
		.amdhsa_system_sgpr_workgroup_id_y 1
		.amdhsa_system_sgpr_workgroup_id_z 0
		.amdhsa_system_sgpr_workgroup_info 0
		.amdhsa_system_vgpr_workitem_id 1
		.amdhsa_next_free_vgpr 8
		.amdhsa_next_free_sgpr 11
		.amdhsa_named_barrier_count 0
		.amdhsa_reserve_vcc 1
		.amdhsa_float_round_mode_32 0
		.amdhsa_float_round_mode_16_64 0
		.amdhsa_float_denorm_mode_32 3
		.amdhsa_float_denorm_mode_16_64 3
		.amdhsa_fp16_overflow 0
		.amdhsa_memory_ordered 1
		.amdhsa_forward_progress 1
		.amdhsa_inst_pref_size 5
		.amdhsa_round_robin_scheduling 0
		.amdhsa_exception_fp_ieee_invalid_op 0
		.amdhsa_exception_fp_denorm_src 0
		.amdhsa_exception_fp_ieee_div_zero 0
		.amdhsa_exception_fp_ieee_overflow 0
		.amdhsa_exception_fp_ieee_underflow 0
		.amdhsa_exception_fp_ieee_inexact 0
		.amdhsa_exception_int_div_zero 0
	.end_amdhsa_kernel
	.text
.Lfunc_end4:
	.size	_Z22derivative_y2_zerofluxPKfPfjjj, .Lfunc_end4-_Z22derivative_y2_zerofluxPKfPfjjj
                                        ; -- End function
	.set _Z22derivative_y2_zerofluxPKfPfjjj.num_vgpr, 8
	.set _Z22derivative_y2_zerofluxPKfPfjjj.num_agpr, 0
	.set _Z22derivative_y2_zerofluxPKfPfjjj.numbered_sgpr, 11
	.set _Z22derivative_y2_zerofluxPKfPfjjj.num_named_barrier, 0
	.set _Z22derivative_y2_zerofluxPKfPfjjj.private_seg_size, 0
	.set _Z22derivative_y2_zerofluxPKfPfjjj.uses_vcc, 1
	.set _Z22derivative_y2_zerofluxPKfPfjjj.uses_flat_scratch, 0
	.set _Z22derivative_y2_zerofluxPKfPfjjj.has_dyn_sized_stack, 0
	.set _Z22derivative_y2_zerofluxPKfPfjjj.has_recursion, 0
	.set _Z22derivative_y2_zerofluxPKfPfjjj.has_indirect_call, 0
	.section	.AMDGPU.csdata,"",@progbits
; Kernel info:
; codeLenInByte = 580
; TotalNumSgprs: 13
; NumVgprs: 8
; ScratchSize: 0
; MemoryBound: 0
; FloatMode: 240
; IeeeMode: 1
; LDSByteSize: 0 bytes/workgroup (compile time only)
; SGPRBlocks: 0
; VGPRBlocks: 0
; NumSGPRsForWavesPerEU: 13
; NumVGPRsForWavesPerEU: 8
; NamedBarCnt: 0
; Occupancy: 16
; WaveLimiterHint : 0
; COMPUTE_PGM_RSRC2:SCRATCH_EN: 0
; COMPUTE_PGM_RSRC2:USER_SGPR: 2
; COMPUTE_PGM_RSRC2:TRAP_HANDLER: 0
; COMPUTE_PGM_RSRC2:TGID_X_EN: 1
; COMPUTE_PGM_RSRC2:TGID_Y_EN: 1
; COMPUTE_PGM_RSRC2:TGID_Z_EN: 0
; COMPUTE_PGM_RSRC2:TIDIG_COMP_CNT: 1
	.text
	.protected	_Z17derivative_z2_pbcPKfPfjjjj ; -- Begin function _Z17derivative_z2_pbcPKfPfjjjj
	.globl	_Z17derivative_z2_pbcPKfPfjjjj
	.p2align	8
	.type	_Z17derivative_z2_pbcPKfPfjjjj,@function
_Z17derivative_z2_pbcPKfPfjjjj:         ; @_Z17derivative_z2_pbcPKfPfjjjj
; %bb.0:
	s_clause 0x1
	s_load_b32 s2, s[0:1], 0x2c
	s_load_b256 s[4:11], s[0:1], 0x0
	s_wait_xcnt 0x0
	s_bfe_u32 s1, ttmp6, 0x4000c
	s_bfe_u32 s3, ttmp6, 0x40010
	s_add_co_i32 s1, s1, 1
	s_add_co_i32 s3, s3, 1
	s_and_b32 s0, ttmp6, 15
	s_bfe_u32 s12, ttmp6, 0x40004
	s_mul_i32 s1, ttmp9, s1
	s_mul_i32 s3, ttmp7, s3
	s_getreg_b32 s13, hwreg(HW_REG_IB_STS2, 6, 4)
	v_bfe_u32 v2, v0, 10, 10
	s_add_co_i32 s0, s0, s1
	s_add_co_i32 s12, s12, s3
	v_and_b32_e32 v5, 0x3ff, v0
	s_delay_alu instid0(VALU_DEP_2)
	v_add_nc_u32_e32 v6, 1, v2
	s_wait_kmcnt 0x0
	s_and_b32 s1, s2, 0xffff
	s_cmp_eq_u32 s13, 0
	s_cselect_b32 s2, ttmp7, s12
	s_cselect_b32 s0, ttmp9, s0
	v_mad_u32 v1, s9, v2, s2
	s_delay_alu instid0(VALU_DEP_1) | instskip(SKIP_1) | instid1(VALU_DEP_2)
	v_mad_u32 v0, v1, s8, v5
	v_mul_lo_u32 v1, s11, v6
	v_mad_u32 v0, s0, s1, v0
	s_delay_alu instid0(VALU_DEP_2) | instskip(SKIP_1) | instid1(VALU_DEP_1)
	v_lshl_add_u32 v4, v1, 2, 0
	s_mov_b32 s0, exec_lo
	v_lshl_add_u32 v3, v5, 2, v4
	v_lshlrev_b32_e32 v5, 2, v5
	global_load_b32 v7, v0, s[4:5] scale_offset
	v_ashrrev_i32_e32 v1, 31, v0
	s_wait_loadcnt 0x0
	ds_store_b32 v3, v7
	s_wait_dscnt 0x0
	s_barrier_signal -1
	s_barrier_wait -1
	v_cmpx_eq_u32_e32 0, v2
	s_cbranch_execz .LBB5_2
; %bb.1:
	s_mul_i32 s1, s11, s10
	v_dual_add_nc_u32 v8, 0, v5 :: v_dual_add_nc_u32 v6, s10, v6
	s_lshl_b32 s1, s1, 2
	s_delay_alu instid0(SALU_CYCLE_1) | instskip(NEXT) | instid1(VALU_DEP_2)
	v_add3_u32 v7, 0, s1, v5
	v_mul_lo_u32 v6, v6, s11
	ds_load_b32 v7, v7
	v_lshl_add_u32 v6, v6, 2, v8
	s_wait_dscnt 0x0
	ds_store_b32 v8, v7
	ds_load_b32 v7, v3
	s_wait_dscnt 0x0
	ds_store_b32 v6, v7
.LBB5_2:
	s_or_b32 exec_lo, exec_lo, s0
	v_mul_lo_u32 v2, s11, v2
	s_lshl_b32 s0, s11, 2
	s_wait_dscnt 0x0
	v_add3_u32 v4, v4, s0, v5
	s_barrier_signal -1
	s_barrier_wait -1
	v_lshl_add_u64 v[0:1], v[0:1], 2, s[6:7]
	s_delay_alu instid0(VALU_DEP_3) | instskip(NEXT) | instid1(VALU_DEP_1)
	v_lshlrev_b32_e32 v2, 2, v2
	v_add3_u32 v2, 0, v2, v5
	ds_load_b32 v4, v4
	ds_load_b32 v2, v2
	;; [unrolled: 1-line block ×3, first 2 shown]
	s_wait_dscnt 0x0
	v_fmac_f32_e32 v4, -2.0, v3
	s_delay_alu instid0(VALU_DEP_1)
	v_add_f32_e32 v2, v2, v4
	global_store_b32 v[0:1], v2, off
	s_endpgm
	.section	.rodata,"a",@progbits
	.p2align	6, 0x0
	.amdhsa_kernel _Z17derivative_z2_pbcPKfPfjjjj
		.amdhsa_group_segment_fixed_size 0
		.amdhsa_private_segment_fixed_size 0
		.amdhsa_kernarg_size 288
		.amdhsa_user_sgpr_count 2
		.amdhsa_user_sgpr_dispatch_ptr 0
		.amdhsa_user_sgpr_queue_ptr 0
		.amdhsa_user_sgpr_kernarg_segment_ptr 1
		.amdhsa_user_sgpr_dispatch_id 0
		.amdhsa_user_sgpr_kernarg_preload_length 0
		.amdhsa_user_sgpr_kernarg_preload_offset 0
		.amdhsa_user_sgpr_private_segment_size 0
		.amdhsa_wavefront_size32 1
		.amdhsa_uses_dynamic_stack 0
		.amdhsa_enable_private_segment 0
		.amdhsa_system_sgpr_workgroup_id_x 1
		.amdhsa_system_sgpr_workgroup_id_y 1
		.amdhsa_system_sgpr_workgroup_id_z 0
		.amdhsa_system_sgpr_workgroup_info 0
		.amdhsa_system_vgpr_workitem_id 1
		.amdhsa_next_free_vgpr 9
		.amdhsa_next_free_sgpr 14
		.amdhsa_named_barrier_count 0
		.amdhsa_reserve_vcc 0
		.amdhsa_float_round_mode_32 0
		.amdhsa_float_round_mode_16_64 0
		.amdhsa_float_denorm_mode_32 3
		.amdhsa_float_denorm_mode_16_64 3
		.amdhsa_fp16_overflow 0
		.amdhsa_memory_ordered 1
		.amdhsa_forward_progress 1
		.amdhsa_inst_pref_size 4
		.amdhsa_round_robin_scheduling 0
		.amdhsa_exception_fp_ieee_invalid_op 0
		.amdhsa_exception_fp_denorm_src 0
		.amdhsa_exception_fp_ieee_div_zero 0
		.amdhsa_exception_fp_ieee_overflow 0
		.amdhsa_exception_fp_ieee_underflow 0
		.amdhsa_exception_fp_ieee_inexact 0
		.amdhsa_exception_int_div_zero 0
	.end_amdhsa_kernel
	.text
.Lfunc_end5:
	.size	_Z17derivative_z2_pbcPKfPfjjjj, .Lfunc_end5-_Z17derivative_z2_pbcPKfPfjjjj
                                        ; -- End function
	.set _Z17derivative_z2_pbcPKfPfjjjj.num_vgpr, 9
	.set _Z17derivative_z2_pbcPKfPfjjjj.num_agpr, 0
	.set _Z17derivative_z2_pbcPKfPfjjjj.numbered_sgpr, 14
	.set _Z17derivative_z2_pbcPKfPfjjjj.num_named_barrier, 0
	.set _Z17derivative_z2_pbcPKfPfjjjj.private_seg_size, 0
	.set _Z17derivative_z2_pbcPKfPfjjjj.uses_vcc, 0
	.set _Z17derivative_z2_pbcPKfPfjjjj.uses_flat_scratch, 0
	.set _Z17derivative_z2_pbcPKfPfjjjj.has_dyn_sized_stack, 0
	.set _Z17derivative_z2_pbcPKfPfjjjj.has_recursion, 0
	.set _Z17derivative_z2_pbcPKfPfjjjj.has_indirect_call, 0
	.section	.AMDGPU.csdata,"",@progbits
; Kernel info:
; codeLenInByte = 444
; TotalNumSgprs: 14
; NumVgprs: 9
; ScratchSize: 0
; MemoryBound: 0
; FloatMode: 240
; IeeeMode: 1
; LDSByteSize: 0 bytes/workgroup (compile time only)
; SGPRBlocks: 0
; VGPRBlocks: 0
; NumSGPRsForWavesPerEU: 14
; NumVGPRsForWavesPerEU: 9
; NamedBarCnt: 0
; Occupancy: 16
; WaveLimiterHint : 0
; COMPUTE_PGM_RSRC2:SCRATCH_EN: 0
; COMPUTE_PGM_RSRC2:USER_SGPR: 2
; COMPUTE_PGM_RSRC2:TRAP_HANDLER: 0
; COMPUTE_PGM_RSRC2:TGID_X_EN: 1
; COMPUTE_PGM_RSRC2:TGID_Y_EN: 1
; COMPUTE_PGM_RSRC2:TGID_Z_EN: 0
; COMPUTE_PGM_RSRC2:TIDIG_COMP_CNT: 1
	.text
	.protected	_Z22derivative_z2_zerofluxPKfPfjjjj ; -- Begin function _Z22derivative_z2_zerofluxPKfPfjjjj
	.globl	_Z22derivative_z2_zerofluxPKfPfjjjj
	.p2align	8
	.type	_Z22derivative_z2_zerofluxPKfPfjjjj,@function
_Z22derivative_z2_zerofluxPKfPfjjjj:    ; @_Z22derivative_z2_zerofluxPKfPfjjjj
; %bb.0:
	s_clause 0x1
	s_load_b32 s2, s[0:1], 0x2c
	s_load_b128 s[4:7], s[0:1], 0x10
	s_bfe_u32 s8, ttmp6, 0x4000c
	s_bfe_u32 s9, ttmp6, 0x40010
	s_add_co_i32 s8, s8, 1
	s_add_co_i32 s9, s9, 1
	s_and_b32 s3, ttmp6, 15
	s_bfe_u32 s10, ttmp6, 0x40004
	s_mul_i32 s8, ttmp9, s8
	s_mul_i32 s9, ttmp7, s9
	s_getreg_b32 s11, hwreg(HW_REG_IB_STS2, 6, 4)
	v_bfe_u32 v7, v0, 10, 10
	s_add_co_i32 s8, s3, s8
	s_add_co_i32 s10, s10, s9
	v_and_b32_e32 v2, 0x3ff, v0
	s_wait_kmcnt 0x0
	s_and_b32 s9, s2, 0xffff
	s_cmp_eq_u32 s11, 0
	v_mul_lo_u32 v4, s7, v7
	s_cselect_b32 s2, ttmp7, s10
	s_delay_alu instid0(SALU_CYCLE_1) | instskip(SKIP_1) | instid1(VALU_DEP_2)
	v_mad_u32 v1, s5, v7, s2
	s_load_b64 s[2:3], s[0:1], 0x0
	v_lshl_add_u32 v5, v4, 2, 0
	s_delay_alu instid0(VALU_DEP_2) | instskip(SKIP_1) | instid1(VALU_DEP_2)
	v_mad_u32 v0, v1, s4, v2
	s_cselect_b32 s4, ttmp9, s8
	v_lshl_add_u32 v6, v2, 2, v5
	s_delay_alu instid0(VALU_DEP_2)
	v_mad_u32 v0, s4, s9, v0
	s_wait_kmcnt 0x0
	global_load_b32 v3, v0, s[2:3] scale_offset
	v_ashrrev_i32_e32 v1, 31, v0
	s_wait_xcnt 0x0
	s_mov_b32 s2, exec_lo
	s_wait_loadcnt 0x0
	ds_store_b32 v6, v3
	s_wait_dscnt 0x0
	s_barrier_signal -1
	s_barrier_wait -1
                                        ; implicit-def: $vgpr3
	v_cmpx_ne_u32_e32 0, v7
	s_xor_b32 s2, exec_lo, s2
	s_cbranch_execnz .LBB6_3
; %bb.1:
	s_or_saveexec_b32 s2, s2
	s_load_b64 s[0:1], s[0:1], 0x8
	s_xor_b32 exec_lo, exec_lo, s2
	s_cbranch_execnz .LBB6_8
.LBB6_2:
	s_or_b32 exec_lo, exec_lo, s2
	s_wait_kmcnt 0x0
	v_lshl_add_u64 v[0:1], v[0:1], 2, s[0:1]
	global_store_b32 v[0:1], v3, off
	s_endpgm
.LBB6_3:
	ds_load_b32 v6, v6
	s_add_co_i32 s3, s6, -1
                                        ; implicit-def: $vgpr3
	s_delay_alu instid0(SALU_CYCLE_1) | instskip(SKIP_1) | instid1(SALU_CYCLE_1)
	v_cmp_ne_u32_e32 vcc_lo, s3, v7
	s_and_saveexec_b32 s3, vcc_lo
	s_xor_b32 s3, exec_lo, s3
	s_cbranch_execz .LBB6_5
; %bb.4:
	v_dual_add_nc_u32 v3, s7, v4 :: v_dual_lshlrev_b32 v2, 2, v2
	s_lshl_b32 s4, s7, 1
	s_delay_alu instid0(VALU_DEP_1) | instid1(SALU_CYCLE_1)
	v_subrev_nc_u32_e32 v3, s4, v3
	s_lshl_b32 s4, s7, 2
	s_delay_alu instid0(VALU_DEP_2) | instid1(SALU_CYCLE_1)
	v_add3_u32 v4, v5, s4, v2
	s_delay_alu instid0(VALU_DEP_2) | instskip(NEXT) | instid1(VALU_DEP_1)
	v_lshlrev_b32_e32 v3, 2, v3
	v_add3_u32 v2, 0, v3, v2
	ds_load_b32 v3, v4
	ds_load_b32 v2, v2
                                        ; implicit-def: $vgpr4
	s_wait_dscnt 0x1
	v_fmac_f32_e32 v3, -2.0, v6
                                        ; implicit-def: $vgpr6
	s_wait_dscnt 0x0
	s_delay_alu instid0(VALU_DEP_1)
	v_add_f32_e32 v3, v2, v3
                                        ; implicit-def: $vgpr2
.LBB6_5:
	s_and_not1_saveexec_b32 s3, s3
	s_cbranch_execz .LBB6_7
; %bb.6:
	v_subrev_nc_u32_e32 v3, s7, v4
	s_delay_alu instid0(VALU_DEP_1) | instskip(NEXT) | instid1(VALU_DEP_1)
	v_dual_lshlrev_b32 v2, 2, v2 :: v_dual_lshlrev_b32 v3, 2, v3
	v_add3_u32 v2, 0, v3, v2
	ds_load_b32 v2, v2
	s_wait_dscnt 0x0
	v_sub_f32_e32 v3, v2, v6
.LBB6_7:
	s_or_b32 exec_lo, exec_lo, s3
                                        ; implicit-def: $vgpr2
                                        ; implicit-def: $vgpr6
	s_or_saveexec_b32 s2, s2
	s_load_b64 s[0:1], s[0:1], 0x8
	s_xor_b32 exec_lo, exec_lo, s2
	s_cbranch_execz .LBB6_2
.LBB6_8:
	v_lshlrev_b32_e32 v2, 2, v2
	s_lshl_b32 s3, s7, 2
	s_delay_alu instid0(VALU_DEP_1) | instid1(SALU_CYCLE_1)
	v_add3_u32 v2, 0, s3, v2
	ds_load_b32 v2, v2
	s_wait_dscnt 0x1
	ds_load_b32 v3, v6
	s_wait_dscnt 0x0
	v_sub_f32_e32 v3, v2, v3
	s_or_b32 exec_lo, exec_lo, s2
	s_wait_kmcnt 0x0
	v_lshl_add_u64 v[0:1], v[0:1], 2, s[0:1]
	global_store_b32 v[0:1], v3, off
	s_endpgm
	.section	.rodata,"a",@progbits
	.p2align	6, 0x0
	.amdhsa_kernel _Z22derivative_z2_zerofluxPKfPfjjjj
		.amdhsa_group_segment_fixed_size 0
		.amdhsa_private_segment_fixed_size 0
		.amdhsa_kernarg_size 288
		.amdhsa_user_sgpr_count 2
		.amdhsa_user_sgpr_dispatch_ptr 0
		.amdhsa_user_sgpr_queue_ptr 0
		.amdhsa_user_sgpr_kernarg_segment_ptr 1
		.amdhsa_user_sgpr_dispatch_id 0
		.amdhsa_user_sgpr_kernarg_preload_length 0
		.amdhsa_user_sgpr_kernarg_preload_offset 0
		.amdhsa_user_sgpr_private_segment_size 0
		.amdhsa_wavefront_size32 1
		.amdhsa_uses_dynamic_stack 0
		.amdhsa_enable_private_segment 0
		.amdhsa_system_sgpr_workgroup_id_x 1
		.amdhsa_system_sgpr_workgroup_id_y 1
		.amdhsa_system_sgpr_workgroup_id_z 0
		.amdhsa_system_sgpr_workgroup_info 0
		.amdhsa_system_vgpr_workitem_id 1
		.amdhsa_next_free_vgpr 8
		.amdhsa_next_free_sgpr 12
		.amdhsa_named_barrier_count 0
		.amdhsa_reserve_vcc 1
		.amdhsa_float_round_mode_32 0
		.amdhsa_float_round_mode_16_64 0
		.amdhsa_float_denorm_mode_32 3
		.amdhsa_float_denorm_mode_16_64 3
		.amdhsa_fp16_overflow 0
		.amdhsa_memory_ordered 1
		.amdhsa_forward_progress 1
		.amdhsa_inst_pref_size 5
		.amdhsa_round_robin_scheduling 0
		.amdhsa_exception_fp_ieee_invalid_op 0
		.amdhsa_exception_fp_denorm_src 0
		.amdhsa_exception_fp_ieee_div_zero 0
		.amdhsa_exception_fp_ieee_overflow 0
		.amdhsa_exception_fp_ieee_underflow 0
		.amdhsa_exception_fp_ieee_inexact 0
		.amdhsa_exception_int_div_zero 0
	.end_amdhsa_kernel
	.text
.Lfunc_end6:
	.size	_Z22derivative_z2_zerofluxPKfPfjjjj, .Lfunc_end6-_Z22derivative_z2_zerofluxPKfPfjjjj
                                        ; -- End function
	.set _Z22derivative_z2_zerofluxPKfPfjjjj.num_vgpr, 8
	.set _Z22derivative_z2_zerofluxPKfPfjjjj.num_agpr, 0
	.set _Z22derivative_z2_zerofluxPKfPfjjjj.numbered_sgpr, 12
	.set _Z22derivative_z2_zerofluxPKfPfjjjj.num_named_barrier, 0
	.set _Z22derivative_z2_zerofluxPKfPfjjjj.private_seg_size, 0
	.set _Z22derivative_z2_zerofluxPKfPfjjjj.uses_vcc, 1
	.set _Z22derivative_z2_zerofluxPKfPfjjjj.uses_flat_scratch, 0
	.set _Z22derivative_z2_zerofluxPKfPfjjjj.has_dyn_sized_stack, 0
	.set _Z22derivative_z2_zerofluxPKfPfjjjj.has_recursion, 0
	.set _Z22derivative_z2_zerofluxPKfPfjjjj.has_indirect_call, 0
	.section	.AMDGPU.csdata,"",@progbits
; Kernel info:
; codeLenInByte = 580
; TotalNumSgprs: 14
; NumVgprs: 8
; ScratchSize: 0
; MemoryBound: 0
; FloatMode: 240
; IeeeMode: 1
; LDSByteSize: 0 bytes/workgroup (compile time only)
; SGPRBlocks: 0
; VGPRBlocks: 0
; NumSGPRsForWavesPerEU: 14
; NumVGPRsForWavesPerEU: 8
; NamedBarCnt: 0
; Occupancy: 16
; WaveLimiterHint : 0
; COMPUTE_PGM_RSRC2:SCRATCH_EN: 0
; COMPUTE_PGM_RSRC2:USER_SGPR: 2
; COMPUTE_PGM_RSRC2:TRAP_HANDLER: 0
; COMPUTE_PGM_RSRC2:TGID_X_EN: 1
; COMPUTE_PGM_RSRC2:TGID_Y_EN: 1
; COMPUTE_PGM_RSRC2:TGID_Z_EN: 0
; COMPUTE_PGM_RSRC2:TIDIG_COMP_CNT: 1
	.text
	.protected	_Z19construct_laplacianPfPKfS1_S1_jf ; -- Begin function _Z19construct_laplacianPfPKfS1_S1_jf
	.globl	_Z19construct_laplacianPfPKfS1_S1_jf
	.p2align	8
	.type	_Z19construct_laplacianPfPKfS1_S1_jf,@function
_Z19construct_laplacianPfPKfS1_S1_jf:   ; @_Z19construct_laplacianPfPKfS1_S1_jf
; %bb.0:
	s_clause 0x1
	s_load_b32 s4, s[0:1], 0x34
	s_load_b64 s[2:3], s[0:1], 0x20
	s_bfe_u32 s5, ttmp6, 0x4000c
	s_and_b32 s6, ttmp6, 15
	s_add_co_i32 s5, s5, 1
	s_getreg_b32 s7, hwreg(HW_REG_IB_STS2, 6, 4)
	s_mul_i32 s5, ttmp9, s5
	s_mov_b32 s14, 0
	s_add_co_i32 s6, s6, s5
	s_wait_kmcnt 0x0
	s_and_b32 s12, s4, 0xffff
	s_cmp_eq_u32 s7, 0
	s_cselect_b32 s4, ttmp9, s6
	s_delay_alu instid0(SALU_CYCLE_1) | instskip(SKIP_1) | instid1(VALU_DEP_1)
	v_mad_u32 v0, s4, s12, v0
	s_mov_b32 s4, exec_lo
	v_cmpx_gt_u32_e64 s2, v0
	s_cbranch_execz .LBB7_3
; %bb.1:
	s_add_nc_u64 s[16:17], s[0:1], 40
	v_ashrrev_i32_e32 v1, 31, v0
	s_load_b32 s13, s[16:17], 0x0
	s_load_b256 s[4:11], s[0:1], 0x0
	s_delay_alu instid0(VALU_DEP_1) | instskip(SKIP_2) | instid1(SALU_CYCLE_1)
	v_lshlrev_b64_e32 v[2:3], 2, v[0:1]
	s_wait_kmcnt 0x0
	s_mul_i32 s0, s13, s12
	s_ashr_i32 s1, s0, 31
	s_delay_alu instid0(SALU_CYCLE_1)
	s_lshl_b64 s[12:13], s[0:1], 2
.LBB7_2:                                ; =>This Inner Loop Header: Depth=1
	s_delay_alu instid0(VALU_DEP_1)
	v_add_nc_u64_e32 v[4:5], s[6:7], v[2:3]
	v_add_nc_u64_e32 v[6:7], s[8:9], v[2:3]
	;; [unrolled: 1-line block ×3, first 2 shown]
	global_load_b32 v1, v[4:5], off
	global_load_b32 v10, v[6:7], off
	;; [unrolled: 1-line block ×3, first 2 shown]
	s_wait_xcnt 0x2
	v_add_nc_u64_e32 v[4:5], s[4:5], v[2:3]
	v_add_nc_u64_e32 v[2:3], s[12:13], v[2:3]
	v_add_nc_u32_e32 v0, s0, v0
	s_delay_alu instid0(VALU_DEP_1) | instskip(SKIP_4) | instid1(VALU_DEP_1)
	v_cmp_le_u32_e32 vcc_lo, s2, v0
	s_or_b32 s14, vcc_lo, s14
	s_wait_loadcnt 0x1
	v_add_f32_e32 v1, v1, v10
	s_wait_loadcnt 0x0
	v_add_f32_e32 v1, v1, v11
	s_delay_alu instid0(VALU_DEP_1)
	v_mul_f32_e32 v1, s3, v1
	global_store_b32 v[4:5], v1, off
	s_wait_xcnt 0x0
	s_and_not1_b32 exec_lo, exec_lo, s14
	s_cbranch_execnz .LBB7_2
.LBB7_3:
	s_endpgm
	.section	.rodata,"a",@progbits
	.p2align	6, 0x0
	.amdhsa_kernel _Z19construct_laplacianPfPKfS1_S1_jf
		.amdhsa_group_segment_fixed_size 0
		.amdhsa_private_segment_fixed_size 0
		.amdhsa_kernarg_size 296
		.amdhsa_user_sgpr_count 2
		.amdhsa_user_sgpr_dispatch_ptr 0
		.amdhsa_user_sgpr_queue_ptr 0
		.amdhsa_user_sgpr_kernarg_segment_ptr 1
		.amdhsa_user_sgpr_dispatch_id 0
		.amdhsa_user_sgpr_kernarg_preload_length 0
		.amdhsa_user_sgpr_kernarg_preload_offset 0
		.amdhsa_user_sgpr_private_segment_size 0
		.amdhsa_wavefront_size32 1
		.amdhsa_uses_dynamic_stack 0
		.amdhsa_enable_private_segment 0
		.amdhsa_system_sgpr_workgroup_id_x 1
		.amdhsa_system_sgpr_workgroup_id_y 0
		.amdhsa_system_sgpr_workgroup_id_z 0
		.amdhsa_system_sgpr_workgroup_info 0
		.amdhsa_system_vgpr_workitem_id 0
		.amdhsa_next_free_vgpr 12
		.amdhsa_next_free_sgpr 18
		.amdhsa_named_barrier_count 0
		.amdhsa_reserve_vcc 1
		.amdhsa_float_round_mode_32 0
		.amdhsa_float_round_mode_16_64 0
		.amdhsa_float_denorm_mode_32 3
		.amdhsa_float_denorm_mode_16_64 3
		.amdhsa_fp16_overflow 0
		.amdhsa_memory_ordered 1
		.amdhsa_forward_progress 1
		.amdhsa_inst_pref_size 3
		.amdhsa_round_robin_scheduling 0
		.amdhsa_exception_fp_ieee_invalid_op 0
		.amdhsa_exception_fp_denorm_src 0
		.amdhsa_exception_fp_ieee_div_zero 0
		.amdhsa_exception_fp_ieee_overflow 0
		.amdhsa_exception_fp_ieee_underflow 0
		.amdhsa_exception_fp_ieee_inexact 0
		.amdhsa_exception_int_div_zero 0
	.end_amdhsa_kernel
	.text
.Lfunc_end7:
	.size	_Z19construct_laplacianPfPKfS1_S1_jf, .Lfunc_end7-_Z19construct_laplacianPfPKfS1_S1_jf
                                        ; -- End function
	.set _Z19construct_laplacianPfPKfS1_S1_jf.num_vgpr, 12
	.set _Z19construct_laplacianPfPKfS1_S1_jf.num_agpr, 0
	.set _Z19construct_laplacianPfPKfS1_S1_jf.numbered_sgpr, 18
	.set _Z19construct_laplacianPfPKfS1_S1_jf.num_named_barrier, 0
	.set _Z19construct_laplacianPfPKfS1_S1_jf.private_seg_size, 0
	.set _Z19construct_laplacianPfPKfS1_S1_jf.uses_vcc, 1
	.set _Z19construct_laplacianPfPKfS1_S1_jf.uses_flat_scratch, 0
	.set _Z19construct_laplacianPfPKfS1_S1_jf.has_dyn_sized_stack, 0
	.set _Z19construct_laplacianPfPKfS1_S1_jf.has_recursion, 0
	.set _Z19construct_laplacianPfPKfS1_S1_jf.has_indirect_call, 0
	.section	.AMDGPU.csdata,"",@progbits
; Kernel info:
; codeLenInByte = 284
; TotalNumSgprs: 20
; NumVgprs: 12
; ScratchSize: 0
; MemoryBound: 0
; FloatMode: 240
; IeeeMode: 1
; LDSByteSize: 0 bytes/workgroup (compile time only)
; SGPRBlocks: 0
; VGPRBlocks: 0
; NumSGPRsForWavesPerEU: 20
; NumVGPRsForWavesPerEU: 12
; NamedBarCnt: 0
; Occupancy: 16
; WaveLimiterHint : 0
; COMPUTE_PGM_RSRC2:SCRATCH_EN: 0
; COMPUTE_PGM_RSRC2:USER_SGPR: 2
; COMPUTE_PGM_RSRC2:TRAP_HANDLER: 0
; COMPUTE_PGM_RSRC2:TGID_X_EN: 1
; COMPUTE_PGM_RSRC2:TGID_Y_EN: 0
; COMPUTE_PGM_RSRC2:TGID_Z_EN: 0
; COMPUTE_PGM_RSRC2:TIDIG_COMP_CNT: 0
	.text
	.protected	_Z6updatePfS_PKfS1_S1_S1_jf ; -- Begin function _Z6updatePfS_PKfS1_S1_S1_jf
	.globl	_Z6updatePfS_PKfS1_S1_S1_jf
	.p2align	8
	.type	_Z6updatePfS_PKfS1_S1_S1_jf,@function
_Z6updatePfS_PKfS1_S1_S1_jf:            ; @_Z6updatePfS_PKfS1_S1_S1_jf
; %bb.0:
	s_clause 0x1
	s_load_b32 s4, s[0:1], 0x44
	s_load_b64 s[2:3], s[0:1], 0x30
	s_bfe_u32 s5, ttmp6, 0x4000c
	s_and_b32 s6, ttmp6, 15
	s_add_co_i32 s5, s5, 1
	s_getreg_b32 s7, hwreg(HW_REG_IB_STS2, 6, 4)
	s_mul_i32 s5, ttmp9, s5
	s_mov_b32 s18, 0
	s_add_co_i32 s6, s6, s5
	s_wait_kmcnt 0x0
	s_and_b32 s16, s4, 0xffff
	s_cmp_eq_u32 s7, 0
	s_cselect_b32 s4, ttmp9, s6
	s_delay_alu instid0(SALU_CYCLE_1) | instskip(SKIP_1) | instid1(VALU_DEP_1)
	v_mad_u32 v0, s4, s16, v0
	s_mov_b32 s4, exec_lo
	v_cmpx_gt_u32_e64 s2, v0
	s_cbranch_execz .LBB8_3
; %bb.1:
	s_add_nc_u64 s[20:21], s[0:1], 56
	v_ashrrev_i32_e32 v1, 31, v0
	s_load_b32 s17, s[20:21], 0x0
	s_clause 0x1
	s_load_b256 s[4:11], s[0:1], 0x0
	s_load_b128 s[12:15], s[0:1], 0x20
	v_lshlrev_b64_e32 v[2:3], 2, v[0:1]
	s_wait_kmcnt 0x0
	s_mul_i32 s0, s17, s16
	s_delay_alu instid0(SALU_CYCLE_1) | instskip(NEXT) | instid1(SALU_CYCLE_1)
	s_ashr_i32 s1, s0, 31
	s_lshl_b64 s[16:17], s[0:1], 2
.LBB8_2:                                ; =>This Inner Loop Header: Depth=1
	s_delay_alu instid0(VALU_DEP_1)
	v_add_nc_u64_e32 v[4:5], s[8:9], v[2:3]
	v_add_nc_u64_e32 v[6:7], s[12:13], v[2:3]
	;; [unrolled: 1-line block ×7, first 2 shown]
	global_load_b32 v1, v[4:5], off
	global_load_b32 v16, v[6:7], off
	;; [unrolled: 1-line block ×6, first 2 shown]
	v_add_nc_u32_e32 v0, s0, v0
	s_wait_loadcnt 0x4
	v_add_f32_e32 v1, v1, v16
	s_wait_loadcnt 0x2
	s_wait_xcnt 0x5
	v_add_f32_e32 v4, v17, v18
	v_cmp_le_u32_e32 vcc_lo, s2, v0
	s_wait_loadcnt 0x0
	s_delay_alu instid0(VALU_DEP_2)
	v_dual_fmac_f32 v19, s3, v1 :: v_dual_fmac_f32 v20, s3, v4
	s_or_b32 s18, vcc_lo, s18
	global_store_b32 v[12:13], v19, off
	global_store_b32 v[14:15], v20, off
	s_wait_xcnt 0x0
	s_and_not1_b32 exec_lo, exec_lo, s18
	s_cbranch_execnz .LBB8_2
.LBB8_3:
	s_endpgm
	.section	.rodata,"a",@progbits
	.p2align	6, 0x0
	.amdhsa_kernel _Z6updatePfS_PKfS1_S1_S1_jf
		.amdhsa_group_segment_fixed_size 0
		.amdhsa_private_segment_fixed_size 0
		.amdhsa_kernarg_size 312
		.amdhsa_user_sgpr_count 2
		.amdhsa_user_sgpr_dispatch_ptr 0
		.amdhsa_user_sgpr_queue_ptr 0
		.amdhsa_user_sgpr_kernarg_segment_ptr 1
		.amdhsa_user_sgpr_dispatch_id 0
		.amdhsa_user_sgpr_kernarg_preload_length 0
		.amdhsa_user_sgpr_kernarg_preload_offset 0
		.amdhsa_user_sgpr_private_segment_size 0
		.amdhsa_wavefront_size32 1
		.amdhsa_uses_dynamic_stack 0
		.amdhsa_enable_private_segment 0
		.amdhsa_system_sgpr_workgroup_id_x 1
		.amdhsa_system_sgpr_workgroup_id_y 0
		.amdhsa_system_sgpr_workgroup_id_z 0
		.amdhsa_system_sgpr_workgroup_info 0
		.amdhsa_system_vgpr_workitem_id 0
		.amdhsa_next_free_vgpr 21
		.amdhsa_next_free_sgpr 22
		.amdhsa_named_barrier_count 0
		.amdhsa_reserve_vcc 1
		.amdhsa_float_round_mode_32 0
		.amdhsa_float_round_mode_16_64 0
		.amdhsa_float_denorm_mode_32 3
		.amdhsa_float_denorm_mode_16_64 3
		.amdhsa_fp16_overflow 0
		.amdhsa_memory_ordered 1
		.amdhsa_forward_progress 1
		.amdhsa_inst_pref_size 3
		.amdhsa_round_robin_scheduling 0
		.amdhsa_exception_fp_ieee_invalid_op 0
		.amdhsa_exception_fp_denorm_src 0
		.amdhsa_exception_fp_ieee_div_zero 0
		.amdhsa_exception_fp_ieee_overflow 0
		.amdhsa_exception_fp_ieee_underflow 0
		.amdhsa_exception_fp_ieee_inexact 0
		.amdhsa_exception_int_div_zero 0
	.end_amdhsa_kernel
	.text
.Lfunc_end8:
	.size	_Z6updatePfS_PKfS1_S1_S1_jf, .Lfunc_end8-_Z6updatePfS_PKfS1_S1_S1_jf
                                        ; -- End function
	.set _Z6updatePfS_PKfS1_S1_S1_jf.num_vgpr, 21
	.set _Z6updatePfS_PKfS1_S1_S1_jf.num_agpr, 0
	.set _Z6updatePfS_PKfS1_S1_S1_jf.numbered_sgpr, 22
	.set _Z6updatePfS_PKfS1_S1_S1_jf.num_named_barrier, 0
	.set _Z6updatePfS_PKfS1_S1_S1_jf.private_seg_size, 0
	.set _Z6updatePfS_PKfS1_S1_S1_jf.uses_vcc, 1
	.set _Z6updatePfS_PKfS1_S1_S1_jf.uses_flat_scratch, 0
	.set _Z6updatePfS_PKfS1_S1_S1_jf.has_dyn_sized_stack, 0
	.set _Z6updatePfS_PKfS1_S1_S1_jf.has_recursion, 0
	.set _Z6updatePfS_PKfS1_S1_S1_jf.has_indirect_call, 0
	.section	.AMDGPU.csdata,"",@progbits
; Kernel info:
; codeLenInByte = 352
; TotalNumSgprs: 24
; NumVgprs: 21
; ScratchSize: 0
; MemoryBound: 0
; FloatMode: 240
; IeeeMode: 1
; LDSByteSize: 0 bytes/workgroup (compile time only)
; SGPRBlocks: 0
; VGPRBlocks: 1
; NumSGPRsForWavesPerEU: 24
; NumVGPRsForWavesPerEU: 21
; NamedBarCnt: 0
; Occupancy: 16
; WaveLimiterHint : 0
; COMPUTE_PGM_RSRC2:SCRATCH_EN: 0
; COMPUTE_PGM_RSRC2:USER_SGPR: 2
; COMPUTE_PGM_RSRC2:TRAP_HANDLER: 0
; COMPUTE_PGM_RSRC2:TGID_X_EN: 1
; COMPUTE_PGM_RSRC2:TGID_Y_EN: 0
; COMPUTE_PGM_RSRC2:TGID_Z_EN: 0
; COMPUTE_PGM_RSRC2:TIDIG_COMP_CNT: 0
	.text
	.p2alignl 7, 3214868480
	.fill 96, 4, 3214868480
	.section	.AMDGPU.gpr_maximums,"",@progbits
	.set amdgpu.max_num_vgpr, 0
	.set amdgpu.max_num_agpr, 0
	.set amdgpu.max_num_sgpr, 0
	.text
	.type	__hip_cuid_7dc1a10e49d69afd,@object ; @__hip_cuid_7dc1a10e49d69afd
	.section	.bss,"aw",@nobits
	.globl	__hip_cuid_7dc1a10e49d69afd
__hip_cuid_7dc1a10e49d69afd:
	.byte	0                               ; 0x0
	.size	__hip_cuid_7dc1a10e49d69afd, 1

	.ident	"AMD clang version 22.0.0git (https://github.com/RadeonOpenCompute/llvm-project roc-7.2.4 26084 f58b06dce1f9c15707c5f808fd002e18c2accf7e)"
	.section	".note.GNU-stack","",@progbits
	.addrsig
	.addrsig_sym __hip_cuid_7dc1a10e49d69afd
	.amdgpu_metadata
---
amdhsa.kernels:
  - .args:
      - .actual_access:  read_only
        .address_space:  global
        .offset:         0
        .size:           8
        .value_kind:     global_buffer
      - .actual_access:  read_only
        .address_space:  global
        .offset:         8
        .size:           8
        .value_kind:     global_buffer
      - .actual_access:  write_only
        .address_space:  global
        .offset:         16
        .size:           8
        .value_kind:     global_buffer
      - .actual_access:  write_only
        .address_space:  global
        .offset:         24
        .size:           8
        .value_kind:     global_buffer
      - .offset:         32
        .size:           4
        .value_kind:     by_value
      - .offset:         36
        .size:           4
        .value_kind:     by_value
      - .offset:         40
        .size:           4
        .value_kind:     by_value
      - .offset:         48
        .size:           4
        .value_kind:     hidden_block_count_x
      - .offset:         52
        .size:           4
        .value_kind:     hidden_block_count_y
      - .offset:         56
        .size:           4
        .value_kind:     hidden_block_count_z
      - .offset:         60
        .size:           2
        .value_kind:     hidden_group_size_x
      - .offset:         62
        .size:           2
        .value_kind:     hidden_group_size_y
      - .offset:         64
        .size:           2
        .value_kind:     hidden_group_size_z
      - .offset:         66
        .size:           2
        .value_kind:     hidden_remainder_x
      - .offset:         68
        .size:           2
        .value_kind:     hidden_remainder_y
      - .offset:         70
        .size:           2
        .value_kind:     hidden_remainder_z
      - .offset:         88
        .size:           8
        .value_kind:     hidden_global_offset_x
      - .offset:         96
        .size:           8
        .value_kind:     hidden_global_offset_y
      - .offset:         104
        .size:           8
        .value_kind:     hidden_global_offset_z
      - .offset:         112
        .size:           2
        .value_kind:     hidden_grid_dims
    .group_segment_fixed_size: 0
    .kernarg_segment_align: 8
    .kernarg_segment_size: 304
    .language:       OpenCL C
    .language_version:
      - 2
      - 0
    .max_flat_workgroup_size: 1024
    .name:           _Z19reaction_gray_scottPKfS0_PfS1_jff
    .private_segment_fixed_size: 0
    .sgpr_count:     20
    .sgpr_spill_count: 0
    .symbol:         _Z19reaction_gray_scottPKfS0_PfS1_jff.kd
    .uniform_work_group_size: 1
    .uses_dynamic_stack: false
    .vgpr_count:     12
    .vgpr_spill_count: 0
    .wavefront_size: 32
  - .args:
      - .actual_access:  read_only
        .address_space:  global
        .offset:         0
        .size:           8
        .value_kind:     global_buffer
      - .actual_access:  write_only
        .address_space:  global
        .offset:         8
        .size:           8
        .value_kind:     global_buffer
      - .offset:         16
        .size:           4
        .value_kind:     by_value
      - .offset:         20
        .size:           4
        .value_kind:     by_value
      - .offset:         24
        .size:           4
        .value_kind:     by_value
      - .offset:         32
        .size:           4
        .value_kind:     hidden_block_count_x
      - .offset:         36
        .size:           4
        .value_kind:     hidden_block_count_y
      - .offset:         40
        .size:           4
        .value_kind:     hidden_block_count_z
      - .offset:         44
        .size:           2
        .value_kind:     hidden_group_size_x
      - .offset:         46
        .size:           2
        .value_kind:     hidden_group_size_y
      - .offset:         48
        .size:           2
        .value_kind:     hidden_group_size_z
      - .offset:         50
        .size:           2
        .value_kind:     hidden_remainder_x
      - .offset:         52
        .size:           2
        .value_kind:     hidden_remainder_y
      - .offset:         54
        .size:           2
        .value_kind:     hidden_remainder_z
      - .offset:         72
        .size:           8
        .value_kind:     hidden_global_offset_x
      - .offset:         80
        .size:           8
        .value_kind:     hidden_global_offset_y
      - .offset:         88
        .size:           8
        .value_kind:     hidden_global_offset_z
      - .offset:         96
        .size:           2
        .value_kind:     hidden_grid_dims
      - .offset:         152
        .size:           4
        .value_kind:     hidden_dynamic_lds_size
    .group_segment_fixed_size: 0
    .kernarg_segment_align: 8
    .kernarg_segment_size: 288
    .language:       OpenCL C
    .language_version:
      - 2
      - 0
    .max_flat_workgroup_size: 1024
    .name:           _Z17derivative_x2_pbcPKfPfjjj
    .private_segment_fixed_size: 0
    .sgpr_count:     12
    .sgpr_spill_count: 0
    .symbol:         _Z17derivative_x2_pbcPKfPfjjj.kd
    .uniform_work_group_size: 1
    .uses_dynamic_stack: false
    .vgpr_count:     8
    .vgpr_spill_count: 0
    .wavefront_size: 32
  - .args:
      - .actual_access:  read_only
        .address_space:  global
        .offset:         0
        .size:           8
        .value_kind:     global_buffer
      - .actual_access:  write_only
        .address_space:  global
        .offset:         8
        .size:           8
        .value_kind:     global_buffer
      - .offset:         16
        .size:           4
        .value_kind:     by_value
      - .offset:         20
        .size:           4
        .value_kind:     by_value
      - .offset:         24
        .size:           4
        .value_kind:     hidden_block_count_x
      - .offset:         28
        .size:           4
        .value_kind:     hidden_block_count_y
      - .offset:         32
        .size:           4
        .value_kind:     hidden_block_count_z
      - .offset:         36
        .size:           2
        .value_kind:     hidden_group_size_x
      - .offset:         38
        .size:           2
        .value_kind:     hidden_group_size_y
      - .offset:         40
        .size:           2
        .value_kind:     hidden_group_size_z
      - .offset:         42
        .size:           2
        .value_kind:     hidden_remainder_x
      - .offset:         44
        .size:           2
        .value_kind:     hidden_remainder_y
      - .offset:         46
        .size:           2
        .value_kind:     hidden_remainder_z
      - .offset:         64
        .size:           8
        .value_kind:     hidden_global_offset_x
      - .offset:         72
        .size:           8
        .value_kind:     hidden_global_offset_y
      - .offset:         80
        .size:           8
        .value_kind:     hidden_global_offset_z
      - .offset:         88
        .size:           2
        .value_kind:     hidden_grid_dims
      - .offset:         144
        .size:           4
        .value_kind:     hidden_dynamic_lds_size
    .group_segment_fixed_size: 0
    .kernarg_segment_align: 8
    .kernarg_segment_size: 280
    .language:       OpenCL C
    .language_version:
      - 2
      - 0
    .max_flat_workgroup_size: 1024
    .name:           _Z22derivative_x2_zerofluxPKfPfjj
    .private_segment_fixed_size: 0
    .sgpr_count:     14
    .sgpr_spill_count: 0
    .symbol:         _Z22derivative_x2_zerofluxPKfPfjj.kd
    .uniform_work_group_size: 1
    .uses_dynamic_stack: false
    .vgpr_count:     6
    .vgpr_spill_count: 0
    .wavefront_size: 32
  - .args:
      - .actual_access:  read_only
        .address_space:  global
        .offset:         0
        .size:           8
        .value_kind:     global_buffer
      - .actual_access:  write_only
        .address_space:  global
        .offset:         8
        .size:           8
        .value_kind:     global_buffer
      - .offset:         16
        .size:           4
        .value_kind:     by_value
      - .offset:         20
        .size:           4
        .value_kind:     by_value
      - .offset:         24
        .size:           4
        .value_kind:     by_value
      - .offset:         32
        .size:           4
        .value_kind:     hidden_block_count_x
      - .offset:         36
        .size:           4
        .value_kind:     hidden_block_count_y
      - .offset:         40
        .size:           4
        .value_kind:     hidden_block_count_z
      - .offset:         44
        .size:           2
        .value_kind:     hidden_group_size_x
      - .offset:         46
        .size:           2
        .value_kind:     hidden_group_size_y
      - .offset:         48
        .size:           2
        .value_kind:     hidden_group_size_z
      - .offset:         50
        .size:           2
        .value_kind:     hidden_remainder_x
      - .offset:         52
        .size:           2
        .value_kind:     hidden_remainder_y
      - .offset:         54
        .size:           2
        .value_kind:     hidden_remainder_z
      - .offset:         72
        .size:           8
        .value_kind:     hidden_global_offset_x
      - .offset:         80
        .size:           8
        .value_kind:     hidden_global_offset_y
      - .offset:         88
        .size:           8
        .value_kind:     hidden_global_offset_z
      - .offset:         96
        .size:           2
        .value_kind:     hidden_grid_dims
      - .offset:         152
        .size:           4
        .value_kind:     hidden_dynamic_lds_size
    .group_segment_fixed_size: 0
    .kernarg_segment_align: 8
    .kernarg_segment_size: 288
    .language:       OpenCL C
    .language_version:
      - 2
      - 0
    .max_flat_workgroup_size: 1024
    .name:           _Z17derivative_y2_pbcPKfPfjjj
    .private_segment_fixed_size: 0
    .sgpr_count:     11
    .sgpr_spill_count: 0
    .symbol:         _Z17derivative_y2_pbcPKfPfjjj.kd
    .uniform_work_group_size: 1
    .uses_dynamic_stack: false
    .vgpr_count:     9
    .vgpr_spill_count: 0
    .wavefront_size: 32
  - .args:
      - .actual_access:  read_only
        .address_space:  global
        .offset:         0
        .size:           8
        .value_kind:     global_buffer
      - .actual_access:  write_only
        .address_space:  global
        .offset:         8
        .size:           8
        .value_kind:     global_buffer
      - .offset:         16
        .size:           4
        .value_kind:     by_value
      - .offset:         20
        .size:           4
        .value_kind:     by_value
      - .offset:         24
        .size:           4
        .value_kind:     by_value
      - .offset:         32
        .size:           4
        .value_kind:     hidden_block_count_x
      - .offset:         36
        .size:           4
        .value_kind:     hidden_block_count_y
      - .offset:         40
        .size:           4
        .value_kind:     hidden_block_count_z
      - .offset:         44
        .size:           2
        .value_kind:     hidden_group_size_x
      - .offset:         46
        .size:           2
        .value_kind:     hidden_group_size_y
      - .offset:         48
        .size:           2
        .value_kind:     hidden_group_size_z
      - .offset:         50
        .size:           2
        .value_kind:     hidden_remainder_x
      - .offset:         52
        .size:           2
        .value_kind:     hidden_remainder_y
      - .offset:         54
        .size:           2
        .value_kind:     hidden_remainder_z
      - .offset:         72
        .size:           8
        .value_kind:     hidden_global_offset_x
      - .offset:         80
        .size:           8
        .value_kind:     hidden_global_offset_y
      - .offset:         88
        .size:           8
        .value_kind:     hidden_global_offset_z
      - .offset:         96
        .size:           2
        .value_kind:     hidden_grid_dims
      - .offset:         152
        .size:           4
        .value_kind:     hidden_dynamic_lds_size
    .group_segment_fixed_size: 0
    .kernarg_segment_align: 8
    .kernarg_segment_size: 288
    .language:       OpenCL C
    .language_version:
      - 2
      - 0
    .max_flat_workgroup_size: 1024
    .name:           _Z22derivative_y2_zerofluxPKfPfjjj
    .private_segment_fixed_size: 0
    .sgpr_count:     13
    .sgpr_spill_count: 0
    .symbol:         _Z22derivative_y2_zerofluxPKfPfjjj.kd
    .uniform_work_group_size: 1
    .uses_dynamic_stack: false
    .vgpr_count:     8
    .vgpr_spill_count: 0
    .wavefront_size: 32
  - .args:
      - .actual_access:  read_only
        .address_space:  global
        .offset:         0
        .size:           8
        .value_kind:     global_buffer
      - .actual_access:  write_only
        .address_space:  global
        .offset:         8
        .size:           8
        .value_kind:     global_buffer
      - .offset:         16
        .size:           4
        .value_kind:     by_value
      - .offset:         20
        .size:           4
        .value_kind:     by_value
      - .offset:         24
        .size:           4
        .value_kind:     by_value
      - .offset:         28
        .size:           4
        .value_kind:     by_value
      - .offset:         32
        .size:           4
        .value_kind:     hidden_block_count_x
      - .offset:         36
        .size:           4
        .value_kind:     hidden_block_count_y
      - .offset:         40
        .size:           4
        .value_kind:     hidden_block_count_z
      - .offset:         44
        .size:           2
        .value_kind:     hidden_group_size_x
      - .offset:         46
        .size:           2
        .value_kind:     hidden_group_size_y
      - .offset:         48
        .size:           2
        .value_kind:     hidden_group_size_z
      - .offset:         50
        .size:           2
        .value_kind:     hidden_remainder_x
      - .offset:         52
        .size:           2
        .value_kind:     hidden_remainder_y
      - .offset:         54
        .size:           2
        .value_kind:     hidden_remainder_z
      - .offset:         72
        .size:           8
        .value_kind:     hidden_global_offset_x
      - .offset:         80
        .size:           8
        .value_kind:     hidden_global_offset_y
      - .offset:         88
        .size:           8
        .value_kind:     hidden_global_offset_z
      - .offset:         96
        .size:           2
        .value_kind:     hidden_grid_dims
      - .offset:         152
        .size:           4
        .value_kind:     hidden_dynamic_lds_size
    .group_segment_fixed_size: 0
    .kernarg_segment_align: 8
    .kernarg_segment_size: 288
    .language:       OpenCL C
    .language_version:
      - 2
      - 0
    .max_flat_workgroup_size: 1024
    .name:           _Z17derivative_z2_pbcPKfPfjjjj
    .private_segment_fixed_size: 0
    .sgpr_count:     14
    .sgpr_spill_count: 0
    .symbol:         _Z17derivative_z2_pbcPKfPfjjjj.kd
    .uniform_work_group_size: 1
    .uses_dynamic_stack: false
    .vgpr_count:     9
    .vgpr_spill_count: 0
    .wavefront_size: 32
  - .args:
      - .actual_access:  read_only
        .address_space:  global
        .offset:         0
        .size:           8
        .value_kind:     global_buffer
      - .actual_access:  write_only
        .address_space:  global
        .offset:         8
        .size:           8
        .value_kind:     global_buffer
      - .offset:         16
        .size:           4
        .value_kind:     by_value
      - .offset:         20
        .size:           4
        .value_kind:     by_value
      - .offset:         24
        .size:           4
        .value_kind:     by_value
      - .offset:         28
        .size:           4
        .value_kind:     by_value
      - .offset:         32
        .size:           4
        .value_kind:     hidden_block_count_x
      - .offset:         36
        .size:           4
        .value_kind:     hidden_block_count_y
      - .offset:         40
        .size:           4
        .value_kind:     hidden_block_count_z
      - .offset:         44
        .size:           2
        .value_kind:     hidden_group_size_x
      - .offset:         46
        .size:           2
        .value_kind:     hidden_group_size_y
      - .offset:         48
        .size:           2
        .value_kind:     hidden_group_size_z
      - .offset:         50
        .size:           2
        .value_kind:     hidden_remainder_x
      - .offset:         52
        .size:           2
        .value_kind:     hidden_remainder_y
      - .offset:         54
        .size:           2
        .value_kind:     hidden_remainder_z
      - .offset:         72
        .size:           8
        .value_kind:     hidden_global_offset_x
      - .offset:         80
        .size:           8
        .value_kind:     hidden_global_offset_y
      - .offset:         88
        .size:           8
        .value_kind:     hidden_global_offset_z
      - .offset:         96
        .size:           2
        .value_kind:     hidden_grid_dims
      - .offset:         152
        .size:           4
        .value_kind:     hidden_dynamic_lds_size
    .group_segment_fixed_size: 0
    .kernarg_segment_align: 8
    .kernarg_segment_size: 288
    .language:       OpenCL C
    .language_version:
      - 2
      - 0
    .max_flat_workgroup_size: 1024
    .name:           _Z22derivative_z2_zerofluxPKfPfjjjj
    .private_segment_fixed_size: 0
    .sgpr_count:     14
    .sgpr_spill_count: 0
    .symbol:         _Z22derivative_z2_zerofluxPKfPfjjjj.kd
    .uniform_work_group_size: 1
    .uses_dynamic_stack: false
    .vgpr_count:     8
    .vgpr_spill_count: 0
    .wavefront_size: 32
  - .args:
      - .actual_access:  write_only
        .address_space:  global
        .offset:         0
        .size:           8
        .value_kind:     global_buffer
      - .actual_access:  read_only
        .address_space:  global
        .offset:         8
        .size:           8
        .value_kind:     global_buffer
      - .actual_access:  read_only
        .address_space:  global
        .offset:         16
        .size:           8
        .value_kind:     global_buffer
      - .actual_access:  read_only
        .address_space:  global
        .offset:         24
        .size:           8
        .value_kind:     global_buffer
      - .offset:         32
        .size:           4
        .value_kind:     by_value
      - .offset:         36
        .size:           4
        .value_kind:     by_value
      - .offset:         40
        .size:           4
        .value_kind:     hidden_block_count_x
      - .offset:         44
        .size:           4
        .value_kind:     hidden_block_count_y
      - .offset:         48
        .size:           4
        .value_kind:     hidden_block_count_z
      - .offset:         52
        .size:           2
        .value_kind:     hidden_group_size_x
      - .offset:         54
        .size:           2
        .value_kind:     hidden_group_size_y
      - .offset:         56
        .size:           2
        .value_kind:     hidden_group_size_z
      - .offset:         58
        .size:           2
        .value_kind:     hidden_remainder_x
      - .offset:         60
        .size:           2
        .value_kind:     hidden_remainder_y
      - .offset:         62
        .size:           2
        .value_kind:     hidden_remainder_z
      - .offset:         80
        .size:           8
        .value_kind:     hidden_global_offset_x
      - .offset:         88
        .size:           8
        .value_kind:     hidden_global_offset_y
      - .offset:         96
        .size:           8
        .value_kind:     hidden_global_offset_z
      - .offset:         104
        .size:           2
        .value_kind:     hidden_grid_dims
    .group_segment_fixed_size: 0
    .kernarg_segment_align: 8
    .kernarg_segment_size: 296
    .language:       OpenCL C
    .language_version:
      - 2
      - 0
    .max_flat_workgroup_size: 1024
    .name:           _Z19construct_laplacianPfPKfS1_S1_jf
    .private_segment_fixed_size: 0
    .sgpr_count:     20
    .sgpr_spill_count: 0
    .symbol:         _Z19construct_laplacianPfPKfS1_S1_jf.kd
    .uniform_work_group_size: 1
    .uses_dynamic_stack: false
    .vgpr_count:     12
    .vgpr_spill_count: 0
    .wavefront_size: 32
  - .args:
      - .address_space:  global
        .offset:         0
        .size:           8
        .value_kind:     global_buffer
      - .address_space:  global
        .offset:         8
        .size:           8
        .value_kind:     global_buffer
      - .actual_access:  read_only
        .address_space:  global
        .offset:         16
        .size:           8
        .value_kind:     global_buffer
      - .actual_access:  read_only
        .address_space:  global
        .offset:         24
        .size:           8
        .value_kind:     global_buffer
      - .actual_access:  read_only
        .address_space:  global
        .offset:         32
        .size:           8
        .value_kind:     global_buffer
      - .actual_access:  read_only
        .address_space:  global
        .offset:         40
        .size:           8
        .value_kind:     global_buffer
      - .offset:         48
        .size:           4
        .value_kind:     by_value
      - .offset:         52
        .size:           4
        .value_kind:     by_value
      - .offset:         56
        .size:           4
        .value_kind:     hidden_block_count_x
      - .offset:         60
        .size:           4
        .value_kind:     hidden_block_count_y
      - .offset:         64
        .size:           4
        .value_kind:     hidden_block_count_z
      - .offset:         68
        .size:           2
        .value_kind:     hidden_group_size_x
      - .offset:         70
        .size:           2
        .value_kind:     hidden_group_size_y
      - .offset:         72
        .size:           2
        .value_kind:     hidden_group_size_z
      - .offset:         74
        .size:           2
        .value_kind:     hidden_remainder_x
      - .offset:         76
        .size:           2
        .value_kind:     hidden_remainder_y
      - .offset:         78
        .size:           2
        .value_kind:     hidden_remainder_z
      - .offset:         96
        .size:           8
        .value_kind:     hidden_global_offset_x
      - .offset:         104
        .size:           8
        .value_kind:     hidden_global_offset_y
      - .offset:         112
        .size:           8
        .value_kind:     hidden_global_offset_z
      - .offset:         120
        .size:           2
        .value_kind:     hidden_grid_dims
    .group_segment_fixed_size: 0
    .kernarg_segment_align: 8
    .kernarg_segment_size: 312
    .language:       OpenCL C
    .language_version:
      - 2
      - 0
    .max_flat_workgroup_size: 1024
    .name:           _Z6updatePfS_PKfS1_S1_S1_jf
    .private_segment_fixed_size: 0
    .sgpr_count:     24
    .sgpr_spill_count: 0
    .symbol:         _Z6updatePfS_PKfS1_S1_S1_jf.kd
    .uniform_work_group_size: 1
    .uses_dynamic_stack: false
    .vgpr_count:     21
    .vgpr_spill_count: 0
    .wavefront_size: 32
amdhsa.target:   amdgcn-amd-amdhsa--gfx1250
amdhsa.version:
  - 1
  - 2
...

	.end_amdgpu_metadata
